;; amdgpu-corpus repo=ROCm/rocFFT kind=compiled arch=gfx906 opt=O3
	.text
	.amdgcn_target "amdgcn-amd-amdhsa--gfx906"
	.amdhsa_code_object_version 6
	.protected	bluestein_single_fwd_len2002_dim1_dp_op_CI_CI ; -- Begin function bluestein_single_fwd_len2002_dim1_dp_op_CI_CI
	.globl	bluestein_single_fwd_len2002_dim1_dp_op_CI_CI
	.p2align	8
	.type	bluestein_single_fwd_len2002_dim1_dp_op_CI_CI,@function
bluestein_single_fwd_len2002_dim1_dp_op_CI_CI: ; @bluestein_single_fwd_len2002_dim1_dp_op_CI_CI
; %bb.0:
	s_load_dwordx4 s[12:15], s[4:5], 0x28
	s_mov_b64 s[54:55], s[2:3]
	v_mul_u32_u24_e32 v1, 0x169, v0
	s_mov_b64 s[52:53], s[0:1]
	v_add_u32_sdwa v4, s6, v1 dst_sel:DWORD dst_unused:UNUSED_PAD src0_sel:DWORD src1_sel:WORD_1
	v_mov_b32_e32 v5, 0
	s_add_u32 s52, s52, s7
	s_waitcnt lgkmcnt(0)
	v_cmp_gt_u64_e32 vcc, s[12:13], v[4:5]
	s_addc_u32 s53, s53, 0
	s_and_saveexec_b64 s[0:1], vcc
	s_cbranch_execz .LBB0_31
; %bb.1:
	s_load_dwordx4 s[0:3], s[4:5], 0x18
	s_load_dwordx2 s[16:17], s[4:5], 0x0
	v_mov_b32_e32 v5, v4
	s_waitcnt lgkmcnt(0)
	s_load_dwordx4 s[8:11], s[0:1], 0x0
	s_movk_i32 s0, 0xb6
	v_mul_lo_u16_sdwa v1, v1, s0 dst_sel:DWORD dst_unused:UNUSED_PAD src0_sel:WORD_1 src1_sel:DWORD
	v_sub_u16_e32 v140, v0, v1
	buffer_store_dword v5, off, s[52:55], 0 offset:72 ; 4-byte Folded Spill
	s_nop 0
	buffer_store_dword v6, off, s[52:55], 0 offset:76 ; 4-byte Folded Spill
	s_waitcnt lgkmcnt(0)
	v_mad_u64_u32 v[0:1], s[0:1], s10, v4, 0
	v_mad_u64_u32 v[2:3], s[0:1], s8, v140, 0
	v_lshlrev_b32_e32 v255, 4, v140
	v_add_co_u32_e64 v238, s[6:7], s16, v255
	v_mad_u64_u32 v[4:5], s[0:1], s11, v4, v[1:2]
	v_mad_u64_u32 v[5:6], s[0:1], s9, v140, v[3:4]
	v_mov_b32_e32 v1, v4
	v_lshlrev_b64 v[0:1], 4, v[0:1]
	v_mov_b32_e32 v6, s15
	v_mov_b32_e32 v3, v5
	v_add_co_u32_e32 v4, vcc, s14, v0
	v_addc_co_u32_e32 v5, vcc, v6, v1, vcc
	v_lshlrev_b64 v[0:1], 4, v[2:3]
	s_mul_i32 s0, s9, 0x3e9
	s_mul_hi_u32 s1, s8, 0x3e9
	v_add_co_u32_e32 v0, vcc, v4, v0
	v_mov_b32_e32 v2, s17
	s_add_i32 s1, s1, s0
	s_mul_i32 s0, s8, 0x3e9
	v_addc_co_u32_e32 v1, vcc, v5, v1, vcc
	v_addc_co_u32_e64 v35, vcc, 0, v2, s[6:7]
	s_lshl_b64 s[14:15], s[0:1], 4
	v_mov_b32_e32 v40, s15
	v_add_co_u32_e32 v10, vcc, s14, v0
	v_addc_co_u32_e32 v11, vcc, v1, v40, vcc
	s_movk_i32 s0, 0x3000
	global_load_dwordx4 v[2:5], v[0:1], off
	global_load_dwordx4 v[6:9], v[10:11], off
	v_add_co_u32_e32 v0, vcc, s0, v238
	v_addc_co_u32_e32 v1, vcc, 0, v35, vcc
	global_load_dwordx4 v[50:53], v[0:1], off offset:3728
	global_load_dwordx4 v[86:89], v255, s[16:17]
	global_load_dwordx4 v[54:57], v255, s[16:17] offset:2912
	s_mul_hi_u32 s1, s8, 0xfffffccd
	s_mul_i32 s0, s9, 0xfffffccd
	s_sub_i32 s1, s1, s8
	s_add_i32 s1, s1, s0
	s_mul_i32 s0, s8, 0xfffffccd
	s_lshl_b64 s[18:19], s[0:1], 4
	v_mov_b32_e32 v34, s19
	v_add_co_u32_e32 v0, vcc, s18, v10
	v_addc_co_u32_e32 v1, vcc, v11, v34, vcc
	v_add_co_u32_e32 v18, vcc, s14, v0
	v_addc_co_u32_e32 v19, vcc, v1, v40, vcc
	s_movk_i32 s0, 0x4000
	global_load_dwordx4 v[10:13], v[0:1], off
	global_load_dwordx4 v[14:17], v[18:19], off
	v_add_co_u32_e32 v0, vcc, s0, v238
	v_addc_co_u32_e32 v1, vcc, 0, v35, vcc
	global_load_dwordx4 v[58:61], v[0:1], off offset:2544
	v_add_co_u32_e32 v0, vcc, s18, v18
	v_addc_co_u32_e32 v1, vcc, v19, v34, vcc
	s_movk_i32 s0, 0x1000
	v_add_co_u32_e32 v22, vcc, s0, v238
	v_addc_co_u32_e32 v23, vcc, 0, v35, vcc
	global_load_dwordx4 v[18:21], v[0:1], off
	v_add_co_u32_e32 v0, vcc, s14, v0
	v_addc_co_u32_e32 v1, vcc, v1, v40, vcc
	s_movk_i32 s0, 0x5000
	v_add_co_u32_e32 v26, vcc, s0, v238
	v_addc_co_u32_e32 v27, vcc, 0, v35, vcc
	global_load_dwordx4 v[62:65], v[22:23], off offset:1728
	global_load_dwordx4 v[66:69], v[26:27], off offset:1360
	s_movk_i32 s0, 0x2000
	global_load_dwordx4 v[22:25], v[0:1], off
	v_add_co_u32_e32 v0, vcc, s18, v0
	v_addc_co_u32_e32 v1, vcc, v1, v34, vcc
	v_add_co_u32_e32 v38, vcc, s0, v238
	v_addc_co_u32_e32 v39, vcc, 0, v35, vcc
	global_load_dwordx4 v[26:29], v[0:1], off
	v_add_co_u32_e32 v0, vcc, s14, v0
	v_addc_co_u32_e32 v1, vcc, v1, v40, vcc
	s_movk_i32 s0, 0x6000
	v_add_co_u32_e32 v42, vcc, s0, v238
	v_addc_co_u32_e32 v43, vcc, 0, v35, vcc
	global_load_dwordx4 v[30:33], v[0:1], off
	v_add_co_u32_e32 v0, vcc, s18, v0
	buffer_store_dword v35, off, s[52:55], 0 offset:20 ; 4-byte Folded Spill
	v_addc_co_u32_e32 v1, vcc, v1, v34, vcc
	global_load_dwordx4 v[70:73], v[42:43], off offset:176
	global_load_dwordx4 v[34:37], v[0:1], off
	global_load_dwordx4 v[82:85], v[38:39], off offset:544
	global_load_dwordx4 v[74:77], v[38:39], off offset:3456
	v_add_co_u32_e32 v0, vcc, s14, v0
	v_addc_co_u32_e32 v1, vcc, v1, v40, vcc
	global_load_dwordx4 v[38:41], v[0:1], off
	global_load_dwordx4 v[78:81], v[42:43], off offset:3088
	s_movk_i32 s0, 0x5b
	v_cmp_gt_u16_e64 s[0:1], s0, v140
	s_waitcnt vmcnt(17)
	v_mul_f64 v[42:43], v[4:5], v[88:89]
	v_mul_f64 v[46:47], v[8:9], v[52:53]
	;; [unrolled: 1-line block ×4, first 2 shown]
	v_fma_f64 v[2:3], v[2:3], v[86:87], v[42:43]
	buffer_store_dword v86, off, s[52:55], 0 offset:176 ; 4-byte Folded Spill
	s_nop 0
	buffer_store_dword v87, off, s[52:55], 0 offset:180 ; 4-byte Folded Spill
	buffer_store_dword v88, off, s[52:55], 0 offset:184 ; 4-byte Folded Spill
	;; [unrolled: 1-line block ×3, first 2 shown]
	v_fma_f64 v[6:7], v[6:7], v[50:51], v[46:47]
	buffer_store_dword v50, off, s[52:55], 0 offset:24 ; 4-byte Folded Spill
	s_nop 0
	buffer_store_dword v51, off, s[52:55], 0 offset:28 ; 4-byte Folded Spill
	buffer_store_dword v52, off, s[52:55], 0 offset:32 ; 4-byte Folded Spill
	buffer_store_dword v53, off, s[52:55], 0 offset:36 ; 4-byte Folded Spill
	s_load_dwordx2 s[12:13], s[4:5], 0x38
	s_load_dwordx4 s[8:11], s[2:3], 0x0
	s_waitcnt vmcnt(19)
	v_mul_f64 v[42:43], v[20:21], v[64:65]
	s_waitcnt vmcnt(17)
	v_mul_f64 v[46:47], v[24:25], v[68:69]
	v_fma_f64 v[4:5], v[4:5], v[86:87], -v[44:45]
	v_mul_f64 v[44:45], v[18:19], v[64:65]
	v_fma_f64 v[8:9], v[8:9], v[50:51], -v[48:49]
	ds_write_b128 v255, v[2:5]
	ds_write_b128 v255, v[6:9] offset:16016
	v_mul_f64 v[2:3], v[12:13], v[56:57]
	v_mul_f64 v[6:7], v[16:17], v[60:61]
	;; [unrolled: 1-line block ×5, first 2 shown]
	v_fma_f64 v[2:3], v[10:11], v[54:55], v[2:3]
	buffer_store_dword v54, off, s[52:55], 0 offset:40 ; 4-byte Folded Spill
	s_nop 0
	buffer_store_dword v55, off, s[52:55], 0 offset:44 ; 4-byte Folded Spill
	buffer_store_dword v56, off, s[52:55], 0 offset:48 ; 4-byte Folded Spill
	buffer_store_dword v57, off, s[52:55], 0 offset:52 ; 4-byte Folded Spill
	v_fma_f64 v[6:7], v[14:15], v[58:59], v[6:7]
	buffer_store_dword v58, off, s[52:55], 0 offset:56 ; 4-byte Folded Spill
	s_nop 0
	buffer_store_dword v59, off, s[52:55], 0 offset:60 ; 4-byte Folded Spill
	buffer_store_dword v60, off, s[52:55], 0 offset:64 ; 4-byte Folded Spill
	buffer_store_dword v61, off, s[52:55], 0 offset:68 ; 4-byte Folded Spill
	;; [unrolled: 6-line block ×4, first 2 shown]
	s_waitcnt vmcnt(27)
	v_mul_f64 v[18:19], v[28:29], v[84:85]
	v_mul_f64 v[22:23], v[32:33], v[72:73]
	s_waitcnt vmcnt(26)
	v_mul_f64 v[42:43], v[36:37], v[76:77]
	s_waitcnt vmcnt(24)
	v_mul_f64 v[46:47], v[40:41], v[80:81]
	v_fma_f64 v[18:19], v[26:27], v[82:83], v[18:19]
	v_fma_f64 v[22:23], v[30:31], v[70:71], v[22:23]
	v_fma_f64 v[4:5], v[12:13], v[54:55], -v[4:5]
	v_fma_f64 v[8:9], v[16:17], v[58:59], -v[8:9]
	;; [unrolled: 1-line block ×3, first 2 shown]
	v_mul_f64 v[20:21], v[26:27], v[84:85]
	buffer_store_dword v82, off, s[52:55], 0 offset:160 ; 4-byte Folded Spill
	s_nop 0
	buffer_store_dword v83, off, s[52:55], 0 offset:164 ; 4-byte Folded Spill
	buffer_store_dword v84, off, s[52:55], 0 offset:168 ; 4-byte Folded Spill
	buffer_store_dword v85, off, s[52:55], 0 offset:172 ; 4-byte Folded Spill
	v_fma_f64 v[16:17], v[24:25], v[66:67], -v[48:49]
	v_mul_f64 v[24:25], v[30:31], v[72:73]
	buffer_store_dword v70, off, s[52:55], 0 offset:112 ; 4-byte Folded Spill
	s_nop 0
	buffer_store_dword v71, off, s[52:55], 0 offset:116 ; 4-byte Folded Spill
	buffer_store_dword v72, off, s[52:55], 0 offset:120 ; 4-byte Folded Spill
	;; [unrolled: 1-line block ×3, first 2 shown]
	v_mul_f64 v[44:45], v[34:35], v[76:77]
	v_fma_f64 v[26:27], v[34:35], v[74:75], v[42:43]
	buffer_store_dword v74, off, s[52:55], 0 offset:128 ; 4-byte Folded Spill
	s_nop 0
	buffer_store_dword v75, off, s[52:55], 0 offset:132 ; 4-byte Folded Spill
	buffer_store_dword v76, off, s[52:55], 0 offset:136 ; 4-byte Folded Spill
	;; [unrolled: 1-line block ×3, first 2 shown]
	v_mul_f64 v[48:49], v[38:39], v[80:81]
	v_fma_f64 v[30:31], v[38:39], v[78:79], v[46:47]
	buffer_store_dword v78, off, s[52:55], 0 offset:144 ; 4-byte Folded Spill
	s_nop 0
	buffer_store_dword v79, off, s[52:55], 0 offset:148 ; 4-byte Folded Spill
	buffer_store_dword v80, off, s[52:55], 0 offset:152 ; 4-byte Folded Spill
	;; [unrolled: 1-line block ×3, first 2 shown]
	v_fma_f64 v[20:21], v[28:29], v[82:83], -v[20:21]
	v_fma_f64 v[24:25], v[32:33], v[70:71], -v[24:25]
	;; [unrolled: 1-line block ×4, first 2 shown]
	ds_write_b128 v255, v[2:5] offset:2912
	ds_write_b128 v255, v[6:9] offset:18928
	;; [unrolled: 1-line block ×8, first 2 shown]
	s_and_saveexec_b64 s[2:3], s[0:1]
	s_cbranch_execz .LBB0_3
; %bb.2:
	buffer_load_dword v11, off, s[52:55], 0 offset:20 ; 4-byte Folded Reload
	v_mov_b32_e32 v2, s19
	v_add_co_u32_e32 v8, vcc, s18, v0
	v_addc_co_u32_e32 v9, vcc, v1, v2, vcc
	v_add_co_u32_e32 v4, vcc, 0x3000, v238
	v_mov_b32_e32 v10, s15
	global_load_dwordx4 v[0:3], v[8:9], off
	s_waitcnt vmcnt(1)
	v_addc_co_u32_e32 v5, vcc, 0, v11, vcc
	v_add_co_u32_e32 v16, vcc, s14, v8
	v_addc_co_u32_e32 v17, vcc, v9, v10, vcc
	s_movk_i32 s14, 0x7000
	v_add_co_u32_e32 v18, vcc, s14, v238
	global_load_dwordx4 v[4:7], v[4:5], off offset:2272
	v_addc_co_u32_e32 v19, vcc, 0, v11, vcc
	global_load_dwordx4 v[8:11], v[18:19], off offset:1904
	global_load_dwordx4 v[12:15], v[16:17], off
	s_waitcnt vmcnt(2)
	v_mul_f64 v[16:17], v[2:3], v[6:7]
	v_mul_f64 v[6:7], v[0:1], v[6:7]
	s_waitcnt vmcnt(0)
	v_mul_f64 v[18:19], v[14:15], v[10:11]
	v_mul_f64 v[10:11], v[12:13], v[10:11]
	v_fma_f64 v[0:1], v[0:1], v[4:5], v[16:17]
	v_fma_f64 v[2:3], v[2:3], v[4:5], -v[6:7]
	v_fma_f64 v[4:5], v[12:13], v[8:9], v[18:19]
	v_fma_f64 v[6:7], v[14:15], v[8:9], -v[10:11]
	ds_write_b128 v255, v[0:3] offset:14560
	ds_write_b128 v255, v[4:7] offset:30576
.LBB0_3:
	s_or_b64 exec, exec, s[2:3]
	s_waitcnt vmcnt(0) lgkmcnt(0)
	s_barrier
	ds_read_b128 v[40:43], v255
	ds_read_b128 v[56:59], v255 offset:2912
	ds_read_b128 v[52:55], v255 offset:18928
	;; [unrolled: 1-line block ×9, first 2 shown]
                                        ; implicit-def: $vgpr88_vgpr89
                                        ; implicit-def: $vgpr84_vgpr85
	s_and_saveexec_b64 s[2:3], s[0:1]
	s_cbranch_execz .LBB0_5
; %bb.4:
	ds_read_b128 v[88:91], v255 offset:14560
	ds_read_b128 v[84:87], v255 offset:30576
.LBB0_5:
	s_or_b64 exec, exec, s[2:3]
	s_waitcnt lgkmcnt(3)
	v_add_f64 v[48:49], v[40:41], -v[48:49]
	v_add_f64 v[50:51], v[42:43], -v[50:51]
	;; [unrolled: 1-line block ×6, first 2 shown]
	s_waitcnt lgkmcnt(1)
	v_add_f64 v[64:65], v[44:45], -v[64:65]
	v_add_f64 v[66:67], v[46:47], -v[66:67]
	s_waitcnt lgkmcnt(0)
	v_add_f64 v[76:77], v[80:81], -v[72:73]
	v_add_f64 v[78:79], v[82:83], -v[74:75]
	;; [unrolled: 1-line block ×4, first 2 shown]
	v_fma_f64 v[40:41], v[40:41], 2.0, -v[48:49]
	v_fma_f64 v[42:43], v[42:43], 2.0, -v[50:51]
	;; [unrolled: 1-line block ×12, first 2 shown]
	s_load_dwordx2 s[14:15], s[4:5], 0x8
	s_movk_i32 s2, 0xb6
	v_add_co_u32_e32 v160, vcc, s2, v140
	s_movk_i32 s2, 0x38e
	v_lshlrev_b16_e32 v1, 1, v140
	v_add_co_u32_e32 v0, vcc, s2, v140
	v_lshlrev_b32_e32 v1, 4, v1
	v_lshlrev_b32_e32 v2, 5, v140
	s_waitcnt lgkmcnt(0)
	s_barrier
	ds_write_b128 v1, v[40:43]
	buffer_store_dword v1, off, s[52:55], 0 offset:216 ; 4-byte Folded Spill
	ds_write_b128 v1, v[48:51] offset:16
	v_lshlrev_b32_e32 v1, 5, v160
	v_lshlrev_b32_e32 v0, 5, v0
	ds_write_b128 v1, v[56:59]
	buffer_store_dword v1, off, s[52:55], 0 offset:224 ; 4-byte Folded Spill
	ds_write_b128 v1, v[52:55] offset:16
	ds_write_b128 v2, v[68:71] offset:11648
	;; [unrolled: 1-line block ×6, first 2 shown]
	buffer_store_dword v2, off, s[52:55], 0 offset:232 ; 4-byte Folded Spill
	ds_write_b128 v2, v[76:79] offset:23312
	buffer_store_dword v0, off, s[52:55], 0 offset:208 ; 4-byte Folded Spill
	s_and_saveexec_b64 s[2:3], s[0:1]
	s_cbranch_execz .LBB0_7
; %bb.6:
	buffer_load_dword v0, off, s[52:55], 0 offset:208 ; 4-byte Folded Reload
	s_waitcnt vmcnt(0)
	ds_write_b128 v0, v[44:47]
	ds_write_b128 v0, v[84:87] offset:16
.LBB0_7:
	s_or_b64 exec, exec, s[2:3]
	s_movk_i32 s2, 0x9a
	v_cmp_gt_u16_e64 s[2:3], s2, v140
	s_waitcnt vmcnt(0) lgkmcnt(0)
	s_barrier
	s_waitcnt lgkmcnt(0)
                                        ; implicit-def: $vgpr136_vgpr137
	s_and_saveexec_b64 s[4:5], s[2:3]
	s_cbranch_execz .LBB0_9
; %bb.8:
	ds_read_b128 v[40:43], v255
	ds_read_b128 v[48:51], v255 offset:2464
	ds_read_b128 v[56:59], v255 offset:4928
	;; [unrolled: 1-line block ×12, first 2 shown]
.LBB0_9:
	s_or_b64 exec, exec, s[4:5]
	v_and_b32_e32 v0, 1, v140
	buffer_store_dword v0, off, s[52:55], 0 offset:192 ; 4-byte Folded Spill
	v_mul_u32_u24_e32 v0, 12, v0
	v_lshlrev_b32_e32 v0, 4, v0
	global_load_dwordx4 v[112:115], v0, s[14:15]
	global_load_dwordx4 v[108:111], v0, s[14:15] offset:16
	global_load_dwordx4 v[100:103], v0, s[14:15] offset:32
	;; [unrolled: 1-line block ×11, first 2 shown]
	s_mov_b32 s27, 0xbfddbe06
	s_mov_b32 s26, 0x4267c47c
	;; [unrolled: 1-line block ×24, first 2 shown]
	v_mov_b32_e32 v161, v140
	s_mov_b32 s45, 0x3fe5384d
	s_mov_b32 s44, s38
	;; [unrolled: 1-line block ×6, first 2 shown]
	s_waitcnt vmcnt(11) lgkmcnt(11)
	v_mul_f64 v[2:3], v[48:49], v[114:115]
	s_waitcnt vmcnt(10) lgkmcnt(10)
	v_mul_f64 v[6:7], v[56:57], v[110:111]
	v_mul_f64 v[4:5], v[58:59], v[110:111]
	s_waitcnt vmcnt(9) lgkmcnt(9)
	v_mul_f64 v[10:11], v[52:53], v[102:103]
	;; [unrolled: 3-line block ×3, first 2 shown]
	v_mul_f64 v[14:15], v[68:69], v[94:95]
	v_mul_f64 v[8:9], v[54:55], v[102:103]
	v_fma_f64 v[172:173], v[50:51], v[112:113], v[2:3]
	v_fma_f64 v[168:169], v[58:59], v[108:109], v[6:7]
	s_waitcnt vmcnt(4) lgkmcnt(0)
	v_mul_f64 v[6:7], v[136:137], v[90:91]
	v_fma_f64 v[166:167], v[56:57], v[108:109], -v[4:5]
	v_mul_f64 v[4:5], v[64:65], v[98:99]
	v_fma_f64 v[164:165], v[54:55], v[100:101], v[10:11]
	v_mul_f64 v[10:11], v[138:139], v[90:91]
	v_fma_f64 v[170:171], v[48:49], v[112:113], -v[0:1]
	v_fma_f64 v[154:155], v[62:63], v[116:117], v[18:19]
	v_fma_f64 v[158:159], v[70:71], v[92:93], v[14:15]
	;; [unrolled: 1-line block ×3, first 2 shown]
	s_waitcnt vmcnt(2)
	v_mul_f64 v[14:15], v[84:85], v[122:123]
	v_fma_f64 v[32:33], v[66:67], v[96:97], v[4:5]
	v_mul_f64 v[2:3], v[66:67], v[98:99]
	v_fma_f64 v[18:19], v[136:137], v[88:89], -v[10:11]
	v_mul_f64 v[0:1], v[72:73], v[106:107]
	v_fma_f64 v[152:153], v[52:53], v[100:101], -v[8:9]
	v_mul_f64 v[8:9], v[82:83], v[126:127]
	v_add_f64 v[34:35], v[172:173], -v[22:23]
	v_fma_f64 v[14:15], v[86:87], v[120:121], v[14:15]
	v_mul_f64 v[10:11], v[86:87], v[122:123]
	v_fma_f64 v[28:29], v[64:65], v[96:97], -v[2:3]
	v_add_f64 v[178:179], v[170:171], v[18:19]
	s_waitcnt vmcnt(0)
	v_mul_f64 v[2:3], v[44:45], v[130:131]
	v_fma_f64 v[50:51], v[74:75], v[104:105], v[0:1]
	v_mul_f64 v[0:1], v[46:47], v[130:131]
	v_mul_f64 v[4:5], v[34:35], s[26:27]
	v_add_f64 v[38:39], v[168:169], -v[14:15]
	v_fma_f64 v[10:11], v[84:85], v[120:121], -v[10:11]
	v_fma_f64 v[26:27], v[80:81], v[124:125], -v[8:9]
	v_mul_f64 v[12:13], v[70:71], v[94:95]
	v_fma_f64 v[46:47], v[46:47], v[128:129], v[2:3]
	buffer_store_dword v4, off, s[52:55], 0 offset:344 ; 4-byte Folded Spill
	s_nop 0
	buffer_store_dword v5, off, s[52:55], 0 offset:348 ; 4-byte Folded Spill
	buffer_store_dword v18, off, s[52:55], 0 offset:200 ; 4-byte Folded Spill
	s_nop 0
	buffer_store_dword v19, off, s[52:55], 0 offset:204 ; 4-byte Folded Spill
	v_mul_f64 v[8:9], v[38:39], s[30:31]
	v_add_f64 v[176:177], v[166:167], v[10:11]
	buffer_store_dword v22, off, s[52:55], 0 offset:4 ; 4-byte Folded Spill
	s_nop 0
	buffer_store_dword v23, off, s[52:55], 0 offset:8 ; 4-byte Folded Spill
	buffer_store_dword v8, off, s[52:55], 0 offset:352 ; 4-byte Folded Spill
	s_nop 0
	buffer_store_dword v9, off, s[52:55], 0 offset:356 ; 4-byte Folded Spill
	v_fma_f64 v[44:45], v[44:45], v[128:129], -v[0:1]
	v_add_f64 v[224:225], v[164:165], -v[46:47]
	v_fma_f64 v[156:157], v[68:69], v[92:93], -v[12:13]
	v_mul_f64 v[12:13], v[80:81], v[126:127]
	v_mul_f64 v[16:17], v[62:63], v[118:119]
	;; [unrolled: 1-line block ×5, first 2 shown]
	v_add_f64 v[226:227], v[152:153], -v[44:45]
	v_mul_f64 v[200:201], v[38:39], s[40:41]
	v_mul_f64 v[204:205], v[224:225], s[46:47]
	v_fma_f64 v[30:31], v[82:83], v[124:125], v[12:13]
	v_add_f64 v[12:13], v[152:153], v[44:45]
	v_fma_f64 v[48:49], v[60:61], v[116:117], -v[16:17]
	v_mul_f64 v[16:17], v[76:77], v[134:135]
	v_fma_f64 v[36:37], v[72:73], v[104:105], -v[20:21]
	v_fma_f64 v[6:7], v[76:77], v[132:133], -v[6:7]
	v_add_f64 v[72:73], v[50:51], -v[32:33]
	v_mul_f64 v[186:187], v[226:227], s[40:41]
	v_add_f64 v[243:244], v[154:155], -v[30:31]
	v_mul_f64 v[210:211], v[226:227], s[46:47]
	v_add_f64 v[24:25], v[48:49], v[26:27]
	v_fma_f64 v[20:21], v[78:79], v[132:133], v[16:17]
	v_add_f64 v[16:17], v[164:165], v[46:47]
	v_add_f64 v[194:195], v[36:37], v[28:29]
	v_mul_f64 v[214:215], v[72:73], s[38:39]
	v_mul_f64 v[251:252], v[34:35], s[34:35]
	;; [unrolled: 1-line block ×5, first 2 shown]
	v_add_f64 v[228:229], v[158:159], -v[20:21]
	v_mul_f64 v[52:53], v[226:227], s[30:31]
	v_mul_f64 v[174:175], v[72:73], s[34:35]
	v_mul_f64 v[241:242], v[228:229], s[36:37]
	v_fma_f64 v[4:5], v[178:179], s[4:5], v[4:5]
	v_add_f64 v[136:137], v[170:171], -v[18:19]
	v_add_f64 v[18:19], v[172:173], v[22:23]
	v_add_f64 v[2:3], v[40:41], v[4:5]
	v_mul_f64 v[4:5], v[136:137], s[26:27]
	v_fma_f64 v[0:1], v[176:177], s[18:19], v[8:9]
	v_mul_f64 v[196:197], v[136:137], s[30:31]
	s_mov_b32 s27, 0x3fddbe06
	v_mul_f64 v[180:181], v[72:73], s[26:27]
	buffer_store_dword v4, off, s[52:55], 0 offset:368 ; 4-byte Folded Spill
	s_nop 0
	buffer_store_dword v5, off, s[52:55], 0 offset:372 ; 4-byte Folded Spill
	buffer_store_dword v10, off, s[52:55], 0 offset:256 ; 4-byte Folded Spill
	s_nop 0
	buffer_store_dword v11, off, s[52:55], 0 offset:260 ; 4-byte Folded Spill
	v_add_f64 v[0:1], v[0:1], v[2:3]
	buffer_store_dword v14, off, s[52:55], 0 offset:240 ; 4-byte Folded Spill
	s_nop 0
	buffer_store_dword v15, off, s[52:55], 0 offset:244 ; 4-byte Folded Spill
	v_mul_f64 v[220:221], v[136:137], s[36:37]
	v_mul_f64 v[206:207], v[228:229], s[26:27]
	;; [unrolled: 1-line block ×8, first 2 shown]
	v_fma_f64 v[2:3], v[18:19], s[4:5], -v[4:5]
	v_add_f64 v[138:139], v[166:167], -v[10:11]
	v_add_f64 v[10:11], v[156:157], v[6:7]
	v_add_f64 v[8:9], v[168:169], v[14:15]
	v_add_f64 v[2:3], v[42:43], v[2:3]
	v_mul_f64 v[4:5], v[138:139], s[30:31]
	v_mul_f64 v[184:185], v[138:139], s[34:35]
	v_mul_f64 v[222:223], v[138:139], s[40:41]
	v_mul_f64 v[162:163], v[138:139], s[44:45]
	buffer_store_dword v4, off, s[52:55], 0 offset:360 ; 4-byte Folded Spill
	s_nop 0
	buffer_store_dword v5, off, s[52:55], 0 offset:364 ; 4-byte Folded Spill
	v_mul_f64 v[54:55], v[138:139], s[42:43]
	v_mul_f64 v[68:69], v[138:139], s[26:27]
	v_fma_f64 v[136:137], v[8:9], s[4:5], -v[68:69]
	v_fma_f64 v[4:5], v[8:9], s[18:19], -v[4:5]
	v_add_f64 v[2:3], v[4:5], v[2:3]
	v_mul_f64 v[4:5], v[224:225], s[36:37]
	buffer_store_dword v4, off, s[52:55], 0 offset:376 ; 4-byte Folded Spill
	s_nop 0
	buffer_store_dword v5, off, s[52:55], 0 offset:380 ; 4-byte Folded Spill
	v_fma_f64 v[4:5], v[12:13], s[20:21], v[4:5]
	v_add_f64 v[0:1], v[4:5], v[0:1]
	v_mul_f64 v[4:5], v[226:227], s[36:37]
	v_mul_f64 v[226:227], v[226:227], s[38:39]
	buffer_store_dword v4, off, s[52:55], 0 offset:384 ; 4-byte Folded Spill
	s_nop 0
	buffer_store_dword v5, off, s[52:55], 0 offset:388 ; 4-byte Folded Spill
	v_fma_f64 v[4:5], v[16:17], s[20:21], -v[4:5]
	v_add_f64 v[2:3], v[4:5], v[2:3]
	v_mul_f64 v[4:5], v[228:229], s[34:35]
	buffer_store_dword v4, off, s[52:55], 0 offset:392 ; 4-byte Folded Spill
	s_nop 0
	buffer_store_dword v5, off, s[52:55], 0 offset:396 ; 4-byte Folded Spill
	buffer_store_dword v6, off, s[52:55], 0 offset:272 ; 4-byte Folded Spill
	s_nop 0
	buffer_store_dword v7, off, s[52:55], 0 offset:276 ; 4-byte Folded Spill
	;; [unrolled: 3-line block ×3, first 2 shown]
	v_fma_f64 v[4:5], v[10:11], s[24:25], v[4:5]
	v_add_f64 v[230:231], v[156:157], -v[6:7]
	v_add_f64 v[14:15], v[158:159], v[20:21]
	v_mul_f64 v[20:21], v[72:73], s[40:41]
	v_add_f64 v[0:1], v[4:5], v[0:1]
	v_mul_f64 v[4:5], v[230:231], s[34:35]
	buffer_store_dword v4, off, s[52:55], 0 offset:400 ; 4-byte Folded Spill
	s_nop 0
	buffer_store_dword v5, off, s[52:55], 0 offset:404 ; 4-byte Folded Spill
	v_mul_f64 v[188:189], v[230:231], s[44:45]
	v_mul_f64 v[212:213], v[230:231], s[26:27]
	;; [unrolled: 1-line block ×3, first 2 shown]
	s_mov_b32 s37, 0x3fcea1e5
	s_mov_b32 s36, s40
	v_mul_f64 v[234:235], v[243:244], s[36:37]
	v_mul_f64 v[82:83], v[228:229], s[36:37]
	v_fma_f64 v[4:5], v[14:15], s[24:25], -v[4:5]
	v_add_f64 v[2:3], v[4:5], v[2:3]
	v_mul_f64 v[4:5], v[243:244], s[38:39]
	buffer_store_dword v4, off, s[52:55], 0 offset:408 ; 4-byte Folded Spill
	s_nop 0
	buffer_store_dword v5, off, s[52:55], 0 offset:412 ; 4-byte Folded Spill
	buffer_store_dword v26, off, s[52:55], 0 offset:288 ; 4-byte Folded Spill
	s_nop 0
	buffer_store_dword v27, off, s[52:55], 0 offset:292 ; 4-byte Folded Spill
	;; [unrolled: 3-line block ×4, first 2 shown]
	v_fma_f64 v[4:5], v[24:25], s[22:23], v[4:5]
	v_add_f64 v[245:246], v[48:49], -v[26:27]
	v_add_f64 v[26:27], v[154:155], v[30:31]
	v_mul_f64 v[30:31], v[38:39], s[34:35]
	v_fma_f64 v[48:49], v[8:9], s[20:21], -v[54:55]
	v_add_f64 v[0:1], v[4:5], v[0:1]
	v_mul_f64 v[4:5], v[245:246], s[38:39]
	buffer_store_dword v4, off, s[52:55], 0 offset:416 ; 4-byte Folded Spill
	s_nop 0
	buffer_store_dword v5, off, s[52:55], 0 offset:420 ; 4-byte Folded Spill
	buffer_store_dword v28, off, s[52:55], 0 offset:296 ; 4-byte Folded Spill
	s_nop 0
	buffer_store_dword v29, off, s[52:55], 0 offset:300 ; 4-byte Folded Spill
	;; [unrolled: 3-line block ×5, first 2 shown]
	v_mul_f64 v[190:191], v[245:246], s[42:43]
	v_mul_f64 v[216:217], v[245:246], s[30:31]
	;; [unrolled: 1-line block ×3, first 2 shown]
	s_waitcnt vmcnt(0)
	s_barrier
	buffer_store_dword v161, off, s[52:55], 0 ; 4-byte Folded Spill
	v_fma_f64 v[4:5], v[26:27], s[22:23], -v[4:5]
	v_add_f64 v[70:71], v[36:37], -v[28:29]
	v_add_f64 v[198:199], v[50:51], v[32:33]
	v_mul_f64 v[28:29], v[34:35], s[30:31]
	v_mul_f64 v[32:33], v[224:225], s[40:41]
	;; [unrolled: 1-line block ×3, first 2 shown]
	s_mov_b32 s45, 0x3fea55e2
	s_mov_b32 s44, s30
	v_add_f64 v[2:3], v[4:5], v[2:3]
	v_fma_f64 v[4:5], v[194:195], s[28:29], v[20:21]
	v_mul_f64 v[22:23], v[70:71], s[40:41]
	v_mul_f64 v[192:193], v[70:71], s[26:27]
	;; [unrolled: 1-line block ×5, first 2 shown]
	v_add_f64 v[140:141], v[4:5], v[0:1]
	v_fma_f64 v[0:1], v[198:199], s[28:29], -v[22:23]
	v_fma_f64 v[4:5], v[8:9], s[24:25], -v[184:185]
	v_add_f64 v[142:143], v[0:1], v[2:3]
	v_fma_f64 v[0:1], v[178:179], s[18:19], v[28:29]
	v_fma_f64 v[2:3], v[176:177], s[24:25], v[30:31]
	v_add_f64 v[0:1], v[40:41], v[0:1]
	v_add_f64 v[0:1], v[2:3], v[0:1]
	v_fma_f64 v[2:3], v[18:19], s[18:19], -v[196:197]
	v_add_f64 v[2:3], v[42:43], v[2:3]
	v_add_f64 v[2:3], v[4:5], v[2:3]
	v_fma_f64 v[4:5], v[12:13], s[28:29], v[32:33]
	v_add_f64 v[0:1], v[4:5], v[0:1]
	v_fma_f64 v[4:5], v[16:17], s[28:29], -v[186:187]
	v_add_f64 v[2:3], v[4:5], v[2:3]
	v_fma_f64 v[4:5], v[10:11], s[22:23], v[36:37]
	v_add_f64 v[0:1], v[4:5], v[0:1]
	v_fma_f64 v[4:5], v[14:15], s[22:23], -v[188:189]
	v_add_f64 v[2:3], v[4:5], v[2:3]
	v_fma_f64 v[4:5], v[24:25], s[20:21], v[182:183]
	v_add_f64 v[0:1], v[4:5], v[0:1]
	v_fma_f64 v[4:5], v[26:27], s[20:21], -v[190:191]
	v_add_f64 v[2:3], v[4:5], v[2:3]
	v_fma_f64 v[4:5], v[194:195], s[4:5], v[180:181]
	v_add_f64 v[56:57], v[4:5], v[0:1]
	v_fma_f64 v[0:1], v[198:199], s[4:5], -v[192:193]
	v_fma_f64 v[4:5], v[8:9], s[28:29], -v[222:223]
	v_add_f64 v[58:59], v[0:1], v[2:3]
	v_fma_f64 v[0:1], v[178:179], s[20:21], v[202:203]
	v_fma_f64 v[2:3], v[176:177], s[28:29], v[200:201]
	v_add_f64 v[0:1], v[40:41], v[0:1]
	v_add_f64 v[0:1], v[2:3], v[0:1]
	v_fma_f64 v[2:3], v[18:19], s[20:21], -v[220:221]
	v_add_f64 v[2:3], v[42:43], v[2:3]
	v_add_f64 v[2:3], v[4:5], v[2:3]
	v_fma_f64 v[4:5], v[12:13], s[24:25], v[204:205]
	v_add_f64 v[0:1], v[4:5], v[0:1]
	v_fma_f64 v[4:5], v[16:17], s[24:25], -v[210:211]
	v_add_f64 v[2:3], v[4:5], v[2:3]
	v_fma_f64 v[4:5], v[10:11], s[4:5], v[206:207]
	v_add_f64 v[0:1], v[4:5], v[0:1]
	v_fma_f64 v[4:5], v[14:15], s[4:5], -v[212:213]
	v_add_f64 v[2:3], v[4:5], v[2:3]
	v_fma_f64 v[4:5], v[24:25], s[18:19], v[208:209]
	v_add_f64 v[0:1], v[4:5], v[0:1]
	v_fma_f64 v[4:5], v[26:27], s[18:19], -v[216:217]
	v_add_f64 v[2:3], v[4:5], v[2:3]
	v_fma_f64 v[4:5], v[194:195], s[22:23], v[214:215]
	;; [unrolled: 24-line block ×3, first 2 shown]
	v_add_f64 v[144:145], v[4:5], v[0:1]
	v_fma_f64 v[0:1], v[198:199], s[18:19], -v[249:250]
	v_mul_f64 v[4:5], v[34:35], s[38:39]
	v_add_f64 v[146:147], v[0:1], v[2:3]
	v_fma_f64 v[0:1], v[178:179], s[22:23], v[4:5]
	v_add_f64 v[2:3], v[40:41], v[0:1]
	v_mul_f64 v[0:1], v[38:39], s[42:43]
	v_fma_f64 v[6:7], v[176:177], s[20:21], v[0:1]
	v_add_f64 v[6:7], v[6:7], v[2:3]
	v_fma_f64 v[2:3], v[18:19], s[22:23], -v[60:61]
	v_add_f64 v[2:3], v[42:43], v[2:3]
	v_add_f64 v[48:49], v[48:49], v[2:3]
	v_mul_f64 v[2:3], v[224:225], s[30:31]
	v_mul_f64 v[224:225], v[224:225], s[38:39]
	v_fma_f64 v[50:51], v[12:13], s[18:19], v[2:3]
	v_add_f64 v[6:7], v[50:51], v[6:7]
	v_fma_f64 v[50:51], v[16:17], s[18:19], -v[52:53]
	v_add_f64 v[48:49], v[50:51], v[48:49]
	v_fma_f64 v[50:51], v[10:11], s[28:29], v[82:83]
	v_add_f64 v[6:7], v[50:51], v[6:7]
	v_mul_f64 v[50:51], v[230:231], s[36:37]
	v_mul_f64 v[230:231], v[230:231], s[44:45]
	v_fma_f64 v[62:63], v[14:15], s[28:29], -v[50:51]
	v_add_f64 v[62:63], v[62:63], v[48:49]
	v_fma_f64 v[48:49], v[24:25], s[4:5], v[80:81]
	v_add_f64 v[6:7], v[48:49], v[6:7]
	v_mul_f64 v[48:49], v[245:246], s[26:27]
	v_fma_f64 v[64:65], v[26:27], s[4:5], -v[48:49]
	v_add_f64 v[62:63], v[64:65], v[62:63]
	v_fma_f64 v[64:65], v[194:195], s[24:25], v[174:175]
	v_add_f64 v[148:149], v[64:65], v[6:7]
	v_mul_f64 v[6:7], v[70:71], s[34:35]
	v_fma_f64 v[64:65], v[198:199], s[24:25], -v[6:7]
	v_add_f64 v[150:151], v[64:65], v[62:63]
	v_mul_f64 v[64:65], v[34:35], s[40:41]
	v_mul_f64 v[62:63], v[38:39], s[26:27]
	v_fma_f64 v[34:35], v[178:179], s[28:29], v[64:65]
	v_fma_f64 v[38:39], v[176:177], s[4:5], v[62:63]
	v_add_f64 v[34:35], v[40:41], v[34:35]
	v_add_f64 v[34:35], v[38:39], v[34:35]
	v_fma_f64 v[38:39], v[18:19], s[28:29], -v[66:67]
	v_add_f64 v[38:39], v[42:43], v[38:39]
	v_add_f64 v[38:39], v[136:137], v[38:39]
	v_fma_f64 v[136:137], v[12:13], s[22:23], v[224:225]
	v_add_f64 v[34:35], v[136:137], v[34:35]
	v_fma_f64 v[136:137], v[16:17], s[22:23], -v[226:227]
	v_add_f64 v[136:137], v[136:137], v[38:39]
	v_mul_f64 v[38:39], v[228:229], s[44:45]
	v_mul_f64 v[228:229], v[243:244], s[34:35]
	;; [unrolled: 1-line block ×4, first 2 shown]
	v_fma_f64 v[138:139], v[10:11], s[18:19], v[38:39]
	v_add_f64 v[34:35], v[138:139], v[34:35]
	v_fma_f64 v[138:139], v[14:15], s[18:19], -v[230:231]
	v_add_f64 v[136:137], v[138:139], v[136:137]
	v_fma_f64 v[138:139], v[24:25], s[24:25], v[228:229]
	v_add_f64 v[138:139], v[138:139], v[34:35]
	v_fma_f64 v[34:35], v[26:27], s[24:25], -v[243:244]
	v_add_f64 v[74:75], v[34:35], v[136:137]
	v_mul_f64 v[34:35], v[72:73], s[42:43]
	v_fma_f64 v[70:71], v[194:195], s[20:21], v[34:35]
	v_add_f64 v[136:137], v[70:71], v[138:139]
	v_fma_f64 v[70:71], v[198:199], s[20:21], -v[245:246]
	v_add_f64 v[138:139], v[70:71], v[74:75]
	v_lshrrev_b32_e32 v70, 1, v161
	buffer_store_dword v70, off, s[52:55], 0 offset:196 ; 4-byte Folded Spill
	s_and_saveexec_b64 s[26:27], s[2:3]
	s_cbranch_execz .LBB0_11
; %bb.10:
	v_mul_f64 v[74:75], v[14:15], s[18:19]
	v_mul_f64 v[72:73], v[26:27], s[24:25]
	;; [unrolled: 1-line block ×3, first 2 shown]
	v_add_f64 v[170:171], v[40:41], v[170:171]
	v_add_f64 v[74:75], v[230:231], v[74:75]
	v_mul_f64 v[230:231], v[18:19], s[28:29]
	v_add_f64 v[72:73], v[243:244], v[72:73]
	v_add_f64 v[70:71], v[245:246], v[70:71]
	v_mul_f64 v[243:244], v[12:13], s[24:25]
	v_mul_f64 v[245:246], v[10:11], s[24:25]
	v_add_f64 v[66:67], v[66:67], v[230:231]
	v_mul_f64 v[230:231], v[8:9], s[4:5]
	v_add_f64 v[66:67], v[42:43], v[66:67]
	v_add_f64 v[68:69], v[68:69], v[230:231]
	v_mul_f64 v[230:231], v[178:179], s[28:29]
	v_add_f64 v[66:67], v[68:69], v[66:67]
	v_add_f64 v[64:65], v[230:231], -v[64:65]
	v_mul_f64 v[230:231], v[16:17], s[22:23]
	v_mul_f64 v[68:69], v[10:11], s[18:19]
	v_add_f64 v[64:65], v[40:41], v[64:65]
	v_add_f64 v[226:227], v[226:227], v[230:231]
	v_mul_f64 v[230:231], v[24:25], s[24:25]
	v_add_f64 v[38:39], v[68:69], -v[38:39]
	v_mul_f64 v[68:69], v[8:9], s[20:21]
	v_add_f64 v[66:67], v[226:227], v[66:67]
	v_add_f64 v[228:229], v[230:231], -v[228:229]
	v_mul_f64 v[230:231], v[176:177], s[4:5]
	v_add_f64 v[54:55], v[54:55], v[68:69]
	v_mul_f64 v[226:227], v[12:13], s[18:19]
	v_mul_f64 v[68:69], v[194:195], s[20:21]
	v_add_f64 v[66:67], v[74:75], v[66:67]
	v_mul_f64 v[74:75], v[178:179], s[18:19]
	v_add_f64 v[62:63], v[230:231], -v[62:63]
	v_mul_f64 v[230:231], v[12:13], s[22:23]
	v_add_f64 v[2:3], v[226:227], -v[2:3]
	;; [unrolled: 2-line block ×3, first 2 shown]
	v_mul_f64 v[68:69], v[178:179], s[4:5]
	v_add_f64 v[66:67], v[72:73], v[66:67]
	v_mul_f64 v[72:73], v[178:179], s[20:21]
	v_add_f64 v[62:63], v[62:63], v[64:65]
	v_add_f64 v[224:225], v[230:231], -v[224:225]
	v_mul_f64 v[230:231], v[18:19], s[22:23]
	v_mul_f64 v[64:65], v[16:17], s[18:19]
	v_add_f64 v[161:162], v[162:163], v[226:227]
	v_mul_f64 v[226:227], v[16:17], s[4:5]
	v_add_f64 v[28:29], v[74:75], -v[28:29]
	v_add_f64 v[62:63], v[224:225], v[62:63]
	v_add_f64 v[60:61], v[60:61], v[230:231]
	;; [unrolled: 1-line block ×3, first 2 shown]
	v_mul_f64 v[64:65], v[14:15], s[28:29]
	v_mul_f64 v[224:225], v[18:19], s[4:5]
	v_add_f64 v[78:79], v[78:79], v[226:227]
	v_mul_f64 v[226:227], v[16:17], s[20:21]
	v_mul_f64 v[230:231], v[16:17], s[28:29]
	v_add_f64 v[38:39], v[38:39], v[62:63]
	v_add_f64 v[60:61], v[42:43], v[60:61]
	v_mul_f64 v[62:63], v[26:27], s[4:5]
	v_add_f64 v[50:51], v[50:51], v[64:65]
	v_mul_f64 v[64:65], v[178:179], s[22:23]
	v_mul_f64 v[178:179], v[178:179], s[24:25]
	;; [unrolled: 1-line block ×3, first 2 shown]
	v_add_f64 v[28:29], v[40:41], v[28:29]
	v_add_f64 v[38:39], v[228:229], v[38:39]
	;; [unrolled: 1-line block ×3, first 2 shown]
	v_mul_f64 v[60:61], v[18:19], s[18:19]
	v_add_f64 v[48:49], v[48:49], v[62:63]
	v_add_f64 v[4:5], v[64:65], -v[4:5]
	v_mul_f64 v[64:65], v[176:177], s[20:21]
	v_mul_f64 v[62:63], v[198:199], s[24:25]
	;; [unrolled: 1-line block ×3, first 2 shown]
	v_add_f64 v[178:179], v[178:179], -v[251:252]
	v_add_f64 v[52:53], v[52:53], v[54:55]
	v_mul_f64 v[54:55], v[18:19], s[20:21]
	v_mul_f64 v[18:19], v[18:19], s[24:25]
	v_add_f64 v[4:5], v[40:41], v[4:5]
	v_add_f64 v[0:1], v[64:65], -v[0:1]
	v_add_f64 v[6:7], v[6:7], v[62:63]
	v_mul_f64 v[62:63], v[194:195], s[24:25]
	v_mul_f64 v[64:65], v[8:9], s[18:19]
	v_add_f64 v[50:51], v[50:51], v[52:53]
	v_mul_f64 v[52:53], v[176:177], s[18:19]
	v_add_f64 v[54:55], v[220:221], v[54:55]
	v_add_f64 v[60:61], v[196:197], v[60:61]
	v_add_f64 v[0:1], v[0:1], v[4:5]
	v_add_f64 v[4:5], v[253:254], v[18:19]
	v_add_f64 v[62:63], v[62:63], -v[174:175]
	v_mul_f64 v[174:175], v[24:25], s[4:5]
	v_add_f64 v[48:49], v[48:49], v[50:51]
	v_mul_f64 v[50:51], v[10:11], s[28:29]
	v_mul_f64 v[18:19], v[8:9], s[24:25]
	;; [unrolled: 1-line block ×3, first 2 shown]
	v_add_f64 v[0:1], v[2:3], v[0:1]
	v_add_f64 v[4:5], v[42:43], v[4:5]
	v_mul_f64 v[2:3], v[14:15], s[20:21]
	v_add_f64 v[80:81], v[174:175], -v[80:81]
	v_mul_f64 v[174:175], v[12:13], s[20:21]
	v_add_f64 v[50:51], v[50:51], -v[82:83]
	v_mul_f64 v[82:83], v[176:177], s[28:29]
	v_mul_f64 v[176:177], v[176:177], s[22:23]
	v_add_f64 v[8:9], v[222:223], v[8:9]
	v_add_f64 v[4:5], v[161:162], v[4:5]
	v_mul_f64 v[161:162], v[12:13], s[28:29]
	v_add_f64 v[76:77], v[76:77], v[2:3]
	v_mul_f64 v[12:13], v[12:13], s[4:5]
	v_add_f64 v[50:51], v[50:51], v[0:1]
	v_add_f64 v[2:3], v[70:71], v[66:67]
	;; [unrolled: 1-line block ×3, first 2 shown]
	v_mul_f64 v[34:35], v[26:27], s[28:29]
	v_add_f64 v[4:5], v[78:79], v[4:5]
	v_add_f64 v[70:71], v[176:177], -v[232:233]
	v_add_f64 v[176:177], v[40:41], v[178:179]
	v_mul_f64 v[38:39], v[10:11], s[22:23]
	v_add_f64 v[50:51], v[80:81], v[50:51]
	v_mul_f64 v[80:81], v[10:11], s[4:5]
	v_mul_f64 v[178:179], v[198:199], s[18:19]
	v_add_f64 v[34:35], v[247:248], v[34:35]
	v_mul_f64 v[10:11], v[10:11], s[20:21]
	v_add_f64 v[4:5], v[76:77], v[4:5]
	v_add_f64 v[12:13], v[12:13], -v[239:240]
	v_add_f64 v[70:71], v[70:71], v[176:177]
	v_mul_f64 v[76:77], v[24:25], s[22:23]
	v_mul_f64 v[176:177], v[24:25], s[20:21]
	v_add_f64 v[178:179], v[249:250], v[178:179]
	v_mul_f64 v[247:248], v[24:25], s[18:19]
	v_mul_f64 v[24:25], v[24:25], s[28:29]
	v_add_f64 v[34:35], v[34:35], v[4:5]
	v_add_f64 v[10:11], v[10:11], -v[241:242]
	v_add_f64 v[12:13], v[12:13], v[70:71]
	v_add_f64 v[4:5], v[62:63], v[50:51]
	v_mul_f64 v[62:63], v[194:195], s[18:19]
	v_mul_f64 v[78:79], v[14:15], s[24:25]
	;; [unrolled: 1-line block ×3, first 2 shown]
	v_add_f64 v[24:25], v[24:25], -v[234:235]
	v_mul_f64 v[14:15], v[14:15], s[4:5]
	v_add_f64 v[18:19], v[184:185], v[18:19]
	v_add_f64 v[12:13], v[10:11], v[12:13]
	;; [unrolled: 1-line block ×4, first 2 shown]
	v_add_f64 v[54:55], v[62:63], -v[236:237]
	v_add_f64 v[62:63], v[42:43], v[172:173]
	v_mul_f64 v[232:233], v[26:27], s[22:23]
	v_mul_f64 v[239:240], v[26:27], s[20:21]
	;; [unrolled: 1-line block ×3, first 2 shown]
	v_add_f64 v[172:173], v[24:25], v[12:13]
	v_add_f64 v[12:13], v[210:211], v[16:17]
	v_add_f64 v[16:17], v[72:73], -v[202:203]
	v_add_f64 v[8:9], v[8:9], v[34:35]
	v_add_f64 v[24:25], v[42:43], v[60:61]
	;; [unrolled: 1-line block ×5, first 2 shown]
	v_add_f64 v[62:63], v[82:83], -v[200:201]
	v_add_f64 v[26:27], v[216:217], v[26:27]
	v_add_f64 v[16:17], v[40:41], v[16:17]
	;; [unrolled: 1-line block ×7, first 2 shown]
	v_add_f64 v[60:61], v[243:244], -v[204:205]
	v_add_f64 v[30:31], v[228:229], -v[30:31]
	v_add_f64 v[16:17], v[62:63], v[16:17]
	v_add_f64 v[8:9], v[14:15], v[8:9]
	;; [unrolled: 1-line block ×5, first 2 shown]
	v_add_f64 v[62:63], v[80:81], -v[206:207]
	v_add_f64 v[24:25], v[34:35], v[156:157]
	v_add_f64 v[28:29], v[30:31], v[28:29]
	;; [unrolled: 1-line block ×7, first 2 shown]
	buffer_load_dword v18, off, s[52:55], 0 offset:328 ; 4-byte Folded Reload
	buffer_load_dword v19, off, s[52:55], 0 offset:332 ; 4-byte Folded Reload
	v_add_f64 v[30:31], v[38:39], -v[36:37]
	v_mul_f64 v[70:71], v[198:199], s[28:29]
	v_add_f64 v[16:17], v[62:63], v[16:17]
	buffer_load_dword v62, off, s[52:55], 0 offset:368 ; 4-byte Folded Reload
	buffer_load_dword v63, off, s[52:55], 0 offset:372 ; 4-byte Folded Reload
	v_mul_f64 v[50:51], v[198:199], s[4:5]
	v_add_f64 v[12:13], v[26:27], v[12:13]
	buffer_load_dword v26, off, s[52:55], 0 offset:336 ; 4-byte Folded Reload
	buffer_load_dword v27, off, s[52:55], 0 offset:340 ; 4-byte Folded Reload
	v_mul_f64 v[198:199], v[198:199], s[22:23]
	v_add_f64 v[32:33], v[161:162], -v[32:33]
	v_add_f64 v[6:7], v[6:7], v[48:49]
	v_mul_f64 v[48:49], v[194:195], s[4:5]
	v_mul_f64 v[241:242], v[194:195], s[28:29]
	;; [unrolled: 1-line block ×3, first 2 shown]
	v_add_f64 v[22:23], v[22:23], v[70:71]
	v_add_f64 v[50:51], v[192:193], v[50:51]
	;; [unrolled: 1-line block ×4, first 2 shown]
	v_add_f64 v[32:33], v[176:177], -v[182:183]
	v_add_f64 v[20:21], v[241:242], -v[20:21]
	;; [unrolled: 1-line block ×3, first 2 shown]
	v_add_f64 v[28:29], v[30:31], v[28:29]
	v_add_f64 v[30:31], v[48:49], -v[180:181]
	v_add_f64 v[28:29], v[32:33], v[28:29]
	s_waitcnt vmcnt(4)
	v_add_f64 v[18:19], v[24:25], v[18:19]
	v_add_f64 v[24:25], v[247:248], -v[208:209]
	s_waitcnt vmcnt(2)
	v_add_f64 v[62:63], v[62:63], v[224:225]
	s_waitcnt vmcnt(0)
	v_add_f64 v[14:15], v[14:15], v[26:27]
	buffer_load_dword v26, off, s[52:55], 0 offset:320 ; 4-byte Folded Reload
	buffer_load_dword v27, off, s[52:55], 0 offset:324 ; 4-byte Folded Reload
	v_add_f64 v[32:33], v[24:25], v[16:17]
	v_add_f64 v[16:17], v[30:31], v[28:29]
	;; [unrolled: 1-line block ×3, first 2 shown]
	s_waitcnt vmcnt(0)
	v_add_f64 v[18:19], v[18:19], v[26:27]
	buffer_load_dword v26, off, s[52:55], 0 offset:344 ; 4-byte Folded Reload
	buffer_load_dword v27, off, s[52:55], 0 offset:348 ; 4-byte Folded Reload
	;; [unrolled: 1-line block ×6, first 2 shown]
	s_waitcnt vmcnt(4)
	v_add_f64 v[26:27], v[68:69], -v[26:27]
	s_waitcnt vmcnt(2)
	v_add_f64 v[64:65], v[66:67], v[64:65]
	s_waitcnt vmcnt(0)
	v_add_f64 v[52:53], v[52:53], -v[62:63]
	buffer_load_dword v62, off, s[52:55], 0 offset:312 ; 4-byte Folded Reload
	buffer_load_dword v63, off, s[52:55], 0 offset:316 ; 4-byte Folded Reload
	v_add_f64 v[26:27], v[40:41], v[26:27]
	v_add_f64 v[42:43], v[64:65], v[42:43]
	;; [unrolled: 1-line block ×3, first 2 shown]
	s_waitcnt vmcnt(0)
	v_add_f64 v[14:15], v[14:15], v[62:63]
	buffer_load_dword v62, off, s[52:55], 0 offset:296 ; 4-byte Folded Reload
	buffer_load_dword v63, off, s[52:55], 0 offset:300 ; 4-byte Folded Reload
	;; [unrolled: 1-line block ×4, first 2 shown]
	s_waitcnt vmcnt(2)
	v_add_f64 v[18:19], v[18:19], v[62:63]
	buffer_load_dword v62, off, s[52:55], 0 offset:376 ; 4-byte Folded Reload
	buffer_load_dword v63, off, s[52:55], 0 offset:380 ; 4-byte Folded Reload
	;; [unrolled: 1-line block ×4, first 2 shown]
	s_waitcnt vmcnt(4)
	v_add_f64 v[40:41], v[40:41], v[226:227]
	v_add_f64 v[38:39], v[40:41], v[42:43]
	s_waitcnt vmcnt(2)
	v_add_f64 v[62:63], v[174:175], -v[62:63]
	s_waitcnt vmcnt(0)
	v_add_f64 v[14:15], v[14:15], v[64:65]
	buffer_load_dword v64, off, s[52:55], 0 offset:288 ; 4-byte Folded Reload
	buffer_load_dword v65, off, s[52:55], 0 offset:292 ; 4-byte Folded Reload
	buffer_load_dword v36, off, s[52:55], 0 offset:400 ; 4-byte Folded Reload
	buffer_load_dword v37, off, s[52:55], 0 offset:404 ; 4-byte Folded Reload
	buffer_load_dword v40, off, s[52:55], 0 offset:392 ; 4-byte Folded Reload
	buffer_load_dword v41, off, s[52:55], 0 offset:396 ; 4-byte Folded Reload
	buffer_load_dword v42, off, s[52:55], 0 offset:280 ; 4-byte Folded Reload
	buffer_load_dword v43, off, s[52:55], 0 offset:284 ; 4-byte Folded Reload
	v_add_f64 v[26:27], v[62:63], v[26:27]
	s_waitcnt vmcnt(6)
	v_add_f64 v[18:19], v[18:19], v[64:65]
	s_waitcnt vmcnt(4)
	;; [unrolled: 2-line block ×3, first 2 shown]
	v_add_f64 v[40:41], v[245:246], -v[40:41]
	s_waitcnt vmcnt(0)
	v_add_f64 v[14:15], v[14:15], v[42:43]
	buffer_load_dword v42, off, s[52:55], 0 offset:272 ; 4-byte Folded Reload
	buffer_load_dword v43, off, s[52:55], 0 offset:276 ; 4-byte Folded Reload
	v_add_f64 v[36:37], v[36:37], v[38:39]
	v_add_f64 v[26:27], v[40:41], v[26:27]
	;; [unrolled: 1-line block ×3, first 2 shown]
	s_waitcnt vmcnt(0)
	v_add_f64 v[18:19], v[18:19], v[42:43]
	buffer_load_dword v42, off, s[52:55], 0 offset:416 ; 4-byte Folded Reload
	buffer_load_dword v43, off, s[52:55], 0 offset:420 ; 4-byte Folded Reload
	;; [unrolled: 1-line block ×6, first 2 shown]
	v_add_f64 v[18:19], v[18:19], v[44:45]
	s_waitcnt vmcnt(4)
	v_add_f64 v[42:43], v[42:43], v[232:233]
	s_waitcnt vmcnt(2)
	v_add_f64 v[38:39], v[76:77], -v[38:39]
	s_waitcnt vmcnt(0)
	v_add_f64 v[40:41], v[14:15], v[40:41]
	buffer_load_dword v14, off, s[52:55], 0 offset:256 ; 4-byte Folded Reload
	buffer_load_dword v15, off, s[52:55], 0 offset:260 ; 4-byte Folded Reload
	v_add_f64 v[36:37], v[42:43], v[36:37]
	v_add_f64 v[38:39], v[38:39], v[26:27]
	;; [unrolled: 1-line block ×4, first 2 shown]
	s_waitcnt vmcnt(0)
	v_add_f64 v[42:43], v[18:19], v[14:15]
	v_add_f64 v[14:15], v[34:35], v[8:9]
	buffer_load_dword v8, off, s[52:55], 0 offset:4 ; 4-byte Folded Reload
	buffer_load_dword v9, off, s[52:55], 0 offset:8 ; 4-byte Folded Reload
	v_add_f64 v[18:19], v[50:51], v[12:13]
	v_add_f64 v[12:13], v[60:61], v[32:33]
	s_waitcnt vmcnt(0)
	v_add_f64 v[26:27], v[40:41], v[8:9]
	buffer_load_dword v8, off, s[52:55], 0 offset:200 ; 4-byte Folded Reload
	buffer_load_dword v9, off, s[52:55], 0 offset:204 ; 4-byte Folded Reload
	;; [unrolled: 1-line block ×4, first 2 shown]
	s_waitcnt vmcnt(2)
	v_add_f64 v[24:25], v[42:43], v[8:9]
	v_add_f64 v[8:9], v[54:55], v[172:173]
	s_waitcnt vmcnt(1)
	v_mul_u32_u24_e32 v28, 26, v28
	s_waitcnt vmcnt(0)
	v_or_b32_e32 v28, v28, v29
	v_lshlrev_b32_e32 v28, 4, v28
	ds_write_b128 v28, v[24:27]
	ds_write_b128 v28, v[20:23] offset:32
	ds_write_b128 v28, v[16:19] offset:64
	;; [unrolled: 1-line block ×12, first 2 shown]
.LBB0_11:
	s_or_b64 exec, exec, s[26:27]
	s_waitcnt vmcnt(0) lgkmcnt(0)
	s_barrier
	ds_read_b128 v[152:155], v255
	ds_read_b128 v[80:83], v255 offset:4576
	ds_read_b128 v[76:79], v255 offset:9152
	ds_read_b128 v[52:55], v255 offset:13728
	ds_read_b128 v[48:51], v255 offset:18304
	ds_read_b128 v[44:47], v255 offset:22880
	ds_read_b128 v[40:43], v255 offset:27456
	buffer_load_dword v176, off, s[52:55], 0 ; 4-byte Folded Reload
	s_movk_i32 s4, 0x68
                                        ; implicit-def: $vgpr156_vgpr157
	s_waitcnt vmcnt(0)
	v_cmp_gt_u16_e64 s[4:5], s4, v176
	s_and_saveexec_b64 s[18:19], s[4:5]
	s_cbranch_execz .LBB0_13
; %bb.12:
	ds_read_b128 v[136:139], v255 offset:2912
	ds_read_b128 v[148:151], v255 offset:7488
	;; [unrolled: 1-line block ×7, first 2 shown]
.LBB0_13:
	s_or_b64 exec, exec, s[18:19]
	s_movk_i32 s16, 0x4f
	v_mul_lo_u16_sdwa v0, v176, s16 dst_sel:DWORD dst_unused:UNUSED_PAD src0_sel:BYTE_0 src1_sel:DWORD
	v_lshrrev_b16_e32 v161, 11, v0
	v_mul_lo_u16_e32 v0, 26, v161
	v_sub_u16_e32 v0, v176, v0
	v_and_b32_e32 v162, 0xff, v0
	v_mov_b32_e32 v0, s14
	s_movk_i32 s16, 0x60
	v_mov_b32_e32 v1, s15
	v_mad_u64_u32 v[0:1], s[18:19], v162, s16, v[0:1]
	global_load_dwordx4 v[60:63], v[0:1], off offset:432
	global_load_dwordx4 v[64:67], v[0:1], off offset:416
	;; [unrolled: 1-line block ×4, first 2 shown]
	s_movk_i32 s16, 0x4ec5
	s_mov_b32 s18, 0x37e14327
	s_mov_b32 s20, 0x36b3c0b5
	;; [unrolled: 1-line block ×20, first 2 shown]
	s_waitcnt vmcnt(0) lgkmcnt(5)
	v_mul_f64 v[2:3], v[82:83], v[74:75]
	v_fma_f64 v[24:25], v[80:81], v[72:73], -v[2:3]
	v_mul_f64 v[2:3], v[80:81], v[74:75]
	v_fma_f64 v[26:27], v[82:83], v[72:73], v[2:3]
	s_waitcnt lgkmcnt(4)
	v_mul_f64 v[2:3], v[78:79], v[70:71]
	v_fma_f64 v[28:29], v[76:77], v[68:69], -v[2:3]
	v_mul_f64 v[2:3], v[76:77], v[70:71]
	v_fma_f64 v[30:31], v[78:79], v[68:69], v[2:3]
	global_load_dwordx4 v[80:83], v[0:1], off offset:464
	global_load_dwordx4 v[76:79], v[0:1], off offset:448
	s_waitcnt lgkmcnt(3)
	v_mul_f64 v[2:3], v[54:55], v[66:67]
	v_fma_f64 v[32:33], v[52:53], v[64:65], -v[2:3]
	v_mul_f64 v[2:3], v[52:53], v[66:67]
	v_fma_f64 v[34:35], v[54:55], v[64:65], v[2:3]
	s_waitcnt lgkmcnt(2)
	v_mul_f64 v[2:3], v[50:51], v[62:63]
	v_fma_f64 v[36:37], v[48:49], v[60:61], -v[2:3]
	v_mul_f64 v[2:3], v[48:49], v[62:63]
	v_fma_f64 v[38:39], v[50:51], v[60:61], v[2:3]
	s_waitcnt vmcnt(0) lgkmcnt(1)
	v_mul_f64 v[0:1], v[46:47], v[78:79]
	v_fma_f64 v[163:164], v[44:45], v[76:77], -v[0:1]
	v_mul_f64 v[0:1], v[44:45], v[78:79]
	v_fma_f64 v[165:166], v[46:47], v[76:77], v[0:1]
	s_waitcnt lgkmcnt(0)
	v_mul_f64 v[0:1], v[42:43], v[82:83]
	v_fma_f64 v[167:168], v[40:41], v[80:81], -v[0:1]
	v_mul_f64 v[0:1], v[40:41], v[82:83]
	v_fma_f64 v[40:41], v[42:43], v[80:81], v[0:1]
	v_mul_u32_u24_sdwa v0, v160, s16 dst_sel:DWORD dst_unused:UNUSED_PAD src0_sel:WORD_0 src1_sel:DWORD
	v_lshrrev_b32_e32 v47, 19, v0
	v_mul_lo_u16_e32 v0, 26, v47
	v_sub_u16_e32 v0, v160, v0
	buffer_store_dword v0, off, s[52:55], 0 offset:200 ; 4-byte Folded Spill
	v_mul_lo_u16_e32 v0, 0x60, v0
	v_add_co_u32_e32 v16, vcc, s14, v0
	v_mov_b32_e32 v0, s15
	v_addc_co_u32_e32 v17, vcc, 0, v0, vcc
	global_load_dwordx4 v[18:21], v[16:17], off offset:432
	global_load_dwordx4 v[12:15], v[16:17], off offset:416
	;; [unrolled: 1-line block ×4, first 2 shown]
	v_add_f64 v[42:43], v[24:25], v[167:168]
	v_add_f64 v[24:25], v[24:25], -v[167:168]
	s_movk_i32 s16, 0xb6
	s_waitcnt vmcnt(2)
	v_mul_f64 v[10:11], v[84:85], v[14:15]
	s_waitcnt vmcnt(1)
	v_mul_f64 v[4:5], v[144:145], v[50:51]
	;; [unrolled: 2-line block ×3, first 2 shown]
	v_mul_f64 v[0:1], v[150:151], v[54:55]
	v_fma_f64 v[8:9], v[146:147], v[48:49], v[4:5]
	v_mul_f64 v[4:5], v[86:87], v[14:15]
	v_fma_f64 v[6:7], v[150:151], v[52:53], v[2:3]
	v_mul_f64 v[2:3], v[146:147], v[50:51]
	v_fma_f64 v[0:1], v[148:149], v[52:53], -v[0:1]
	v_add_f64 v[146:147], v[30:31], -v[165:166]
	v_add_f64 v[148:149], v[32:33], v[36:37]
	v_add_f64 v[150:151], v[34:35], v[38:39]
	v_fma_f64 v[4:5], v[84:85], v[12:13], -v[4:5]
	buffer_store_dword v12, off, s[52:55], 0 offset:256 ; 4-byte Folded Spill
	s_nop 0
	buffer_store_dword v13, off, s[52:55], 0 offset:260 ; 4-byte Folded Spill
	buffer_store_dword v14, off, s[52:55], 0 offset:264 ; 4-byte Folded Spill
	;; [unrolled: 1-line block ×3, first 2 shown]
	v_mul_f64 v[14:15], v[56:57], v[20:21]
	v_fma_f64 v[2:3], v[144:145], v[48:49], -v[2:3]
	v_add_f64 v[144:145], v[28:29], -v[163:164]
	v_fma_f64 v[10:11], v[86:87], v[12:13], v[10:11]
	v_mul_f64 v[12:13], v[58:59], v[20:21]
	v_fma_f64 v[12:13], v[56:57], v[18:19], -v[12:13]
	buffer_store_dword v18, off, s[52:55], 0 offset:240 ; 4-byte Folded Spill
	s_nop 0
	buffer_store_dword v19, off, s[52:55], 0 offset:244 ; 4-byte Folded Spill
	buffer_store_dword v20, off, s[52:55], 0 offset:248 ; 4-byte Folded Spill
	;; [unrolled: 1-line block ×3, first 2 shown]
	v_fma_f64 v[14:15], v[58:59], v[18:19], v[14:15]
	global_load_dwordx4 v[56:59], v[16:17], off offset:464
	global_load_dwordx4 v[84:87], v[16:17], off offset:448
	s_waitcnt vmcnt(1)
	v_mul_f64 v[20:21], v[158:159], v[58:59]
	s_waitcnt vmcnt(0)
	v_mul_f64 v[16:17], v[142:143], v[86:87]
	v_mul_f64 v[18:19], v[140:141], v[86:87]
	;; [unrolled: 1-line block ×3, first 2 shown]
	v_fma_f64 v[20:21], v[156:157], v[56:57], -v[20:21]
	v_fma_f64 v[16:17], v[140:141], v[84:85], -v[16:17]
	v_fma_f64 v[18:19], v[142:143], v[84:85], v[18:19]
	v_add_f64 v[140:141], v[26:27], v[40:41]
	v_add_f64 v[40:41], v[26:27], -v[40:41]
	v_add_f64 v[26:27], v[28:29], v[163:164]
	v_add_f64 v[142:143], v[30:31], v[165:166]
	v_fma_f64 v[22:23], v[158:159], v[56:57], v[22:23]
	v_add_f64 v[28:29], v[36:37], -v[32:33]
	v_add_f64 v[30:31], v[38:39], -v[34:35]
	;; [unrolled: 1-line block ×5, first 2 shown]
	v_add_f64 v[156:157], v[26:27], v[42:43]
	v_add_f64 v[158:159], v[142:143], v[140:141]
	v_add_f64 v[32:33], v[26:27], -v[42:43]
	v_add_f64 v[34:35], v[142:143], -v[140:141]
	;; [unrolled: 1-line block ×5, first 2 shown]
	v_add_f64 v[26:27], v[28:29], v[144:145]
	v_add_f64 v[140:141], v[30:31], v[146:147]
	v_add_f64 v[169:170], v[28:29], -v[144:145]
	v_add_f64 v[171:172], v[30:31], -v[146:147]
	v_add_f64 v[144:145], v[148:149], v[156:157]
	v_add_f64 v[146:147], v[150:151], v[158:159]
	v_add_f64 v[28:29], v[24:25], -v[28:29]
	v_add_f64 v[30:31], v[40:41], -v[30:31]
	v_add_f64 v[26:27], v[26:27], v[24:25]
	v_add_f64 v[24:25], v[140:141], v[40:41]
	v_mul_f64 v[40:41], v[42:43], s[18:19]
	v_mul_f64 v[42:43], v[163:164], s[18:19]
	v_add_f64 v[140:141], v[152:153], v[144:145]
	v_add_f64 v[142:143], v[154:155], v[146:147]
	v_mul_f64 v[148:149], v[165:166], s[20:21]
	v_mul_f64 v[150:151], v[167:168], s[20:21]
	;; [unrolled: 1-line block ×6, first 2 shown]
	v_fma_f64 v[144:145], v[144:145], s[26:27], v[140:141]
	v_fma_f64 v[146:147], v[146:147], s[26:27], v[142:143]
	;; [unrolled: 1-line block ×4, first 2 shown]
	v_fma_f64 v[148:149], v[32:33], s[28:29], -v[148:149]
	v_fma_f64 v[150:151], v[34:35], s[28:29], -v[150:151]
	;; [unrolled: 1-line block ×4, first 2 shown]
	v_fma_f64 v[40:41], v[28:29], s[36:37], v[152:153]
	v_fma_f64 v[42:43], v[30:31], s[36:37], v[154:155]
	v_fma_f64 v[36:37], v[36:37], s[22:23], -v[152:153]
	v_fma_f64 v[38:39], v[38:39], s[22:23], -v[154:155]
	;; [unrolled: 1-line block ×4, first 2 shown]
	v_add_f64 v[152:153], v[163:164], v[144:145]
	v_add_f64 v[154:155], v[165:166], v[146:147]
	;; [unrolled: 1-line block ×4, first 2 shown]
	v_fma_f64 v[40:41], v[26:27], s[30:31], v[40:41]
	v_fma_f64 v[42:43], v[24:25], s[30:31], v[42:43]
	;; [unrolled: 1-line block ×4, first 2 shown]
	v_add_f64 v[144:145], v[32:33], v[144:145]
	v_add_f64 v[146:147], v[34:35], v[146:147]
	v_fma_f64 v[158:159], v[26:27], s[30:31], v[28:29]
	v_fma_f64 v[163:164], v[24:25], s[30:31], v[30:31]
	v_add_f64 v[26:27], v[154:155], -v[40:41]
	v_add_f64 v[24:25], v[42:43], v[152:153]
	v_add_f64 v[34:35], v[156:157], v[150:151]
	v_add_f64 v[32:33], v[148:149], -v[36:37]
	v_add_f64 v[36:37], v[36:37], v[148:149]
	v_add_f64 v[38:39], v[150:151], -v[156:157]
	v_add_f64 v[148:149], v[152:153], -v[42:43]
	v_add_f64 v[150:151], v[40:41], v[154:155]
	v_add_f64 v[40:41], v[0:1], v[20:21]
	;; [unrolled: 1-line block ×3, first 2 shown]
	v_add_f64 v[0:1], v[0:1], -v[20:21]
	v_add_f64 v[6:7], v[6:7], -v[22:23]
	v_add_f64 v[20:21], v[2:3], v[16:17]
	v_add_f64 v[22:23], v[8:9], v[18:19]
	v_add_f64 v[2:3], v[2:3], -v[16:17]
	v_add_f64 v[8:9], v[8:9], -v[18:19]
	v_add_f64 v[16:17], v[4:5], v[12:13]
	v_add_f64 v[18:19], v[10:11], v[14:15]
	;; [unrolled: 4-line block ×3, first 2 shown]
	v_add_f64 v[28:29], v[163:164], v[144:145]
	v_add_f64 v[30:31], v[146:147], -v[158:159]
	v_add_f64 v[144:145], v[144:145], -v[163:164]
	v_add_f64 v[146:147], v[158:159], v[146:147]
	v_add_f64 v[152:153], v[20:21], -v[40:41]
	v_add_f64 v[154:155], v[22:23], -v[42:43]
	;; [unrolled: 1-line block ×4, first 2 shown]
	v_add_f64 v[156:157], v[4:5], v[2:3]
	v_add_f64 v[158:159], v[10:11], v[8:9]
	v_add_f64 v[163:164], v[4:5], -v[2:3]
	v_add_f64 v[165:166], v[10:11], -v[8:9]
	v_add_f64 v[12:13], v[16:17], v[12:13]
	v_add_f64 v[14:15], v[18:19], v[14:15]
	v_add_f64 v[20:21], v[16:17], -v[20:21]
	v_add_f64 v[22:23], v[18:19], -v[22:23]
	;; [unrolled: 1-line block ×6, first 2 shown]
	v_add_f64 v[156:157], v[156:157], v[0:1]
	v_add_f64 v[158:159], v[158:159], v[6:7]
	;; [unrolled: 1-line block ×4, first 2 shown]
	v_mul_f64 v[0:1], v[40:41], s[18:19]
	v_mul_f64 v[6:7], v[42:43], s[18:19]
	;; [unrolled: 1-line block ×8, first 2 shown]
	v_fma_f64 v[12:13], v[12:13], s[26:27], v[136:137]
	v_fma_f64 v[14:15], v[14:15], s[26:27], v[138:139]
	;; [unrolled: 1-line block ×6, first 2 shown]
	v_fma_f64 v[16:17], v[152:153], s[28:29], -v[16:17]
	v_fma_f64 v[18:19], v[154:155], s[28:29], -v[18:19]
	;; [unrolled: 1-line block ×8, first 2 shown]
	v_add_f64 v[0:1], v[20:21], v[12:13]
	v_add_f64 v[6:7], v[22:23], v[14:15]
	v_fma_f64 v[10:11], v[156:157], s[30:31], v[167:168]
	v_fma_f64 v[8:9], v[158:159], s[30:31], v[169:170]
	v_add_f64 v[2:3], v[16:17], v[12:13]
	v_add_f64 v[16:17], v[18:19], v[14:15]
	v_add_f64 v[4:5], v[152:153], v[12:13]
	v_add_f64 v[12:13], v[154:155], v[14:15]
	v_fma_f64 v[18:19], v[156:157], s[30:31], v[40:41]
	v_fma_f64 v[14:15], v[158:159], s[30:31], v[42:43]
	v_fma_f64 v[22:23], v[156:157], s[30:31], v[163:164]
	v_fma_f64 v[20:21], v[158:159], s[30:31], v[165:166]
	v_add_f64 v[40:41], v[0:1], -v[8:9]
	v_add_f64 v[42:43], v[10:11], v[6:7]
	buffer_store_dword v40, off, s[52:55], 0 offset:4 ; 4-byte Folded Spill
	s_nop 0
	buffer_store_dword v41, off, s[52:55], 0 offset:8 ; 4-byte Folded Spill
	buffer_store_dword v42, off, s[52:55], 0 offset:12 ; 4-byte Folded Spill
	buffer_store_dword v43, off, s[52:55], 0 offset:16 ; 4-byte Folded Spill
	v_add_f64 v[184:185], v[14:15], v[2:3]
	v_add_f64 v[186:187], v[16:17], -v[18:19]
	v_add_f64 v[180:181], v[4:5], -v[20:21]
	v_add_f64 v[182:183], v[22:23], v[12:13]
	v_mul_u32_u24_e32 v40, 0xb6, v161
	v_add_lshl_u32 v40, v40, v162, 4
	s_waitcnt vmcnt(0)
	s_barrier
	ds_write_b128 v40, v[140:143]
	ds_write_b128 v40, v[24:27] offset:416
	ds_write_b128 v40, v[28:31] offset:832
	;; [unrolled: 1-line block ×6, first 2 shown]
	s_and_saveexec_b64 s[18:19], s[4:5]
	s_cbranch_execz .LBB0_15
; %bb.14:
	v_add_f64 v[12:13], v[12:13], -v[22:23]
	v_add_f64 v[22:23], v[8:9], v[0:1]
	buffer_load_dword v0, off, s[52:55], 0 offset:200 ; 4-byte Folded Reload
	v_add_f64 v[24:25], v[6:7], -v[10:11]
	v_add_f64 v[10:11], v[20:21], v[4:5]
	v_add_f64 v[16:17], v[18:19], v[16:17]
	v_add_f64 v[14:15], v[2:3], -v[14:15]
	s_waitcnt vmcnt(0)
	v_mad_legacy_u16 v0, v47, s16, v0
	v_lshlrev_b32_e32 v0, 4, v0
	ds_write_b128 v0, v[136:139]
	ds_write_b128 v0, v[22:25] offset:416
	ds_write_b128 v0, v[10:13] offset:832
	ds_write_b128 v0, v[14:17] offset:1248
	ds_write_b128 v0, v[184:187] offset:1664
	ds_write_b128 v0, v[180:183] offset:2080
	buffer_load_dword v1, off, s[52:55], 0 offset:4 ; 4-byte Folded Reload
	buffer_load_dword v2, off, s[52:55], 0 offset:8 ; 4-byte Folded Reload
	;; [unrolled: 1-line block ×4, first 2 shown]
	s_waitcnt vmcnt(0)
	ds_write_b128 v0, v[1:4] offset:2496
.LBB0_15:
	s_or_b64 exec, exec, s[18:19]
	v_mov_b32_e32 v0, s17
	v_mov_b32_e32 v4, s14
	v_addc_co_u32_e64 v41, vcc, 0, v0, s[6:7]
	s_movk_i32 s6, 0xa0
	v_mov_b32_e32 v5, s15
	v_mad_u64_u32 v[38:39], s[6:7], v176, s6, v[4:5]
	s_waitcnt lgkmcnt(0)
	s_barrier
	ds_read_b128 v[192:195], v255
	ds_read_b128 v[0:3], v255 offset:2912
	ds_read_b128 v[6:9], v255 offset:5824
	;; [unrolled: 1-line block ×10, first 2 shown]
	global_load_dwordx4 v[140:143], v[38:39], off offset:2928
	global_load_dwordx4 v[144:147], v[38:39], off offset:2912
	;; [unrolled: 1-line block ×10, first 2 shown]
	s_mov_b32 s28, 0xf8bb580b
	s_mov_b32 s29, 0xbfe14ced
	;; [unrolled: 1-line block ×26, first 2 shown]
	s_waitcnt vmcnt(6) lgkmcnt(9)
	v_mul_f64 v[4:5], v[2:3], v[162:163]
	v_fma_f64 v[42:43], v[0:1], v[160:161], -v[4:5]
	v_mul_f64 v[0:1], v[0:1], v[162:163]
	v_fma_f64 v[220:221], v[2:3], v[160:161], v[0:1]
	s_waitcnt lgkmcnt(8)
	v_mul_f64 v[0:1], v[8:9], v[154:155]
	v_fma_f64 v[4:5], v[6:7], v[152:153], -v[0:1]
	v_mul_f64 v[0:1], v[6:7], v[154:155]
	v_fma_f64 v[6:7], v[8:9], v[152:153], v[0:1]
	s_waitcnt lgkmcnt(7)
	v_mul_f64 v[0:1], v[12:13], v[146:147]
	s_waitcnt vmcnt(0) lgkmcnt(1)
	v_mul_f64 v[8:9], v[36:37], v[178:179]
	v_fma_f64 v[214:215], v[10:11], v[144:145], -v[0:1]
	v_mul_f64 v[0:1], v[10:11], v[146:147]
	v_fma_f64 v[216:217], v[34:35], v[176:177], -v[8:9]
	v_mul_f64 v[8:9], v[34:35], v[178:179]
	s_waitcnt lgkmcnt(0)
	v_mul_f64 v[10:11], v[172:173], v[166:167]
	v_fma_f64 v[212:213], v[12:13], v[144:145], v[0:1]
	v_mul_f64 v[0:1], v[16:17], v[142:143]
	v_add_f64 v[12:13], v[192:193], v[42:43]
	v_fma_f64 v[218:219], v[36:37], v[176:177], v[8:9]
	v_mul_f64 v[8:9], v[174:175], v[166:167]
	v_fma_f64 v[10:11], v[174:175], v[164:165], v[10:11]
	v_fma_f64 v[206:207], v[14:15], v[140:141], -v[0:1]
	v_mul_f64 v[0:1], v[14:15], v[142:143]
	v_add_f64 v[14:15], v[194:195], v[220:221]
	v_add_f64 v[12:13], v[12:13], v[4:5]
	v_fma_f64 v[8:9], v[172:173], v[164:165], -v[8:9]
	v_add_f64 v[34:35], v[220:221], v[10:11]
	v_fma_f64 v[204:205], v[16:17], v[140:141], v[0:1]
	v_mul_f64 v[0:1], v[20:21], v[170:171]
	v_add_f64 v[14:15], v[14:15], v[6:7]
	v_add_f64 v[12:13], v[12:13], v[214:215]
	v_fma_f64 v[200:201], v[18:19], v[168:169], -v[0:1]
	v_mul_f64 v[0:1], v[18:19], v[170:171]
	v_add_f64 v[14:15], v[14:15], v[212:213]
	v_add_f64 v[12:13], v[12:13], v[206:207]
	v_fma_f64 v[196:197], v[20:21], v[168:169], v[0:1]
	v_mul_f64 v[0:1], v[24:25], v[158:159]
	v_add_f64 v[14:15], v[14:15], v[204:205]
	v_add_f64 v[12:13], v[12:13], v[200:201]
	v_fma_f64 v[202:203], v[22:23], v[156:157], -v[0:1]
	v_mul_f64 v[0:1], v[22:23], v[158:159]
	v_add_f64 v[14:15], v[14:15], v[196:197]
	v_add_f64 v[12:13], v[12:13], v[202:203]
	v_fma_f64 v[198:199], v[24:25], v[156:157], v[0:1]
	v_mul_f64 v[0:1], v[28:29], v[150:151]
	v_add_f64 v[14:15], v[14:15], v[198:199]
	v_fma_f64 v[210:211], v[26:27], v[148:149], -v[0:1]
	v_mul_f64 v[0:1], v[26:27], v[150:151]
	v_add_f64 v[12:13], v[12:13], v[210:211]
	v_fma_f64 v[208:209], v[28:29], v[148:149], v[0:1]
	v_mul_f64 v[0:1], v[32:33], v[138:139]
	v_add_f64 v[28:29], v[220:221], -v[10:11]
	v_add_f64 v[14:15], v[14:15], v[208:209]
	v_fma_f64 v[2:3], v[30:31], v[136:137], -v[0:1]
	v_mul_f64 v[0:1], v[30:31], v[138:139]
	v_add_f64 v[30:31], v[42:43], -v[8:9]
	v_mul_f64 v[222:223], v[28:29], s[30:31]
	v_add_f64 v[12:13], v[12:13], v[2:3]
	v_fma_f64 v[0:1], v[32:33], v[136:137], v[0:1]
	v_add_f64 v[32:33], v[42:43], v[8:9]
	v_mul_f64 v[224:225], v[30:31], s[30:31]
	v_add_f64 v[12:13], v[12:13], v[216:217]
	v_add_f64 v[14:15], v[14:15], v[0:1]
	;; [unrolled: 1-line block ×4, first 2 shown]
	v_mul_f64 v[8:9], v[28:29], s[28:29]
	v_add_f64 v[190:191], v[14:15], v[10:11]
	v_fma_f64 v[10:11], v[32:33], s[20:21], -v[8:9]
	v_fma_f64 v[8:9], v[32:33], s[20:21], v[8:9]
	v_add_f64 v[42:43], v[192:193], v[10:11]
	v_mul_f64 v[10:11], v[30:31], s[28:29]
	v_add_f64 v[174:175], v[192:193], v[8:9]
	v_fma_f64 v[8:9], v[34:35], s[20:21], -v[10:11]
	v_fma_f64 v[12:13], v[34:35], s[20:21], v[10:11]
	v_add_f64 v[220:221], v[194:195], v[8:9]
	;; [unrolled: 5-line block ×6, first 2 shown]
	v_mul_f64 v[8:9], v[28:29], s[24:25]
	v_add_f64 v[22:23], v[194:195], v[12:13]
	v_fma_f64 v[28:29], v[32:33], s[26:27], -v[222:223]
	v_fma_f64 v[10:11], v[32:33], s[22:23], -v[8:9]
	v_fma_f64 v[8:9], v[32:33], s[22:23], v[8:9]
	v_fma_f64 v[32:33], v[32:33], s[26:27], v[222:223]
	v_add_f64 v[28:29], v[192:193], v[28:29]
	v_add_f64 v[20:21], v[192:193], v[10:11]
	v_mul_f64 v[10:11], v[30:31], s[24:25]
	v_fma_f64 v[30:31], v[34:35], s[26:27], v[224:225]
	v_add_f64 v[8:9], v[192:193], v[8:9]
	v_add_f64 v[32:33], v[192:193], v[32:33]
	;; [unrolled: 1-line block ×3, first 2 shown]
	v_add_f64 v[4:5], v[4:5], -v[216:217]
	v_fma_f64 v[12:13], v[34:35], s[22:23], v[10:11]
	v_fma_f64 v[10:11], v[34:35], s[22:23], -v[10:11]
	v_fma_f64 v[34:35], v[34:35], s[26:27], -v[224:225]
	v_add_f64 v[30:31], v[194:195], v[30:31]
	v_add_f64 v[12:13], v[194:195], v[12:13]
	;; [unrolled: 1-line block ×5, first 2 shown]
	v_add_f64 v[6:7], v[6:7], -v[218:219]
	v_mul_f64 v[216:217], v[6:7], s[14:15]
	v_fma_f64 v[218:219], v[192:193], s[16:17], -v[216:217]
	v_fma_f64 v[216:217], v[192:193], s[16:17], v[216:217]
	v_add_f64 v[42:43], v[218:219], v[42:43]
	v_mul_f64 v[218:219], v[4:5], s[14:15]
	v_add_f64 v[174:175], v[216:217], v[174:175]
	s_mov_b32 s15, 0x3fed1bb4
	v_fma_f64 v[222:223], v[194:195], s[16:17], v[218:219]
	v_fma_f64 v[216:217], v[194:195], s[16:17], -v[218:219]
	v_mul_f64 v[218:219], v[6:7], s[24:25]
	v_add_f64 v[172:173], v[222:223], v[172:173]
	v_add_f64 v[216:217], v[216:217], v[220:221]
	v_fma_f64 v[220:221], v[192:193], s[22:23], -v[218:219]
	v_fma_f64 v[218:219], v[192:193], s[22:23], v[218:219]
	v_add_f64 v[38:39], v[220:221], v[38:39]
	v_mul_f64 v[220:221], v[4:5], s[24:25]
	v_add_f64 v[16:17], v[218:219], v[16:17]
	v_fma_f64 v[218:219], v[194:195], s[22:23], -v[220:221]
	v_fma_f64 v[222:223], v[194:195], s[22:23], v[220:221]
	v_add_f64 v[18:19], v[218:219], v[18:19]
	v_mul_f64 v[218:219], v[6:7], s[38:39]
	v_add_f64 v[14:15], v[222:223], v[14:15]
	v_fma_f64 v[220:221], v[192:193], s[26:27], -v[218:219]
	v_fma_f64 v[218:219], v[192:193], s[26:27], v[218:219]
	v_add_f64 v[36:37], v[220:221], v[36:37]
	v_mul_f64 v[220:221], v[4:5], s[38:39]
	v_add_f64 v[24:25], v[218:219], v[24:25]
	v_fma_f64 v[218:219], v[194:195], s[26:27], -v[220:221]
	v_fma_f64 v[222:223], v[194:195], s[26:27], v[220:221]
	v_add_f64 v[26:27], v[218:219], v[26:27]
	v_mul_f64 v[218:219], v[6:7], s[36:37]
	v_mul_f64 v[6:7], v[6:7], s[34:35]
	v_add_f64 v[22:23], v[222:223], v[22:23]
	v_fma_f64 v[220:221], v[192:193], s[6:7], -v[218:219]
	v_fma_f64 v[218:219], v[192:193], s[6:7], v[218:219]
	v_add_f64 v[20:21], v[220:221], v[20:21]
	v_mul_f64 v[220:221], v[4:5], s[36:37]
	v_add_f64 v[8:9], v[218:219], v[8:9]
	v_mul_f64 v[4:5], v[4:5], s[34:35]
	v_fma_f64 v[218:219], v[194:195], s[6:7], -v[220:221]
	v_fma_f64 v[222:223], v[194:195], s[6:7], v[220:221]
	v_add_f64 v[10:11], v[218:219], v[10:11]
	v_fma_f64 v[218:219], v[192:193], s[20:21], -v[6:7]
	v_fma_f64 v[6:7], v[192:193], s[20:21], v[6:7]
	v_add_f64 v[12:13], v[222:223], v[12:13]
	v_add_f64 v[28:29], v[218:219], v[28:29]
	v_fma_f64 v[218:219], v[194:195], s[20:21], v[4:5]
	v_fma_f64 v[4:5], v[194:195], s[20:21], -v[4:5]
	v_add_f64 v[6:7], v[6:7], v[32:33]
	v_add_f64 v[32:33], v[214:215], v[2:3]
	v_add_f64 v[2:3], v[214:215], -v[2:3]
	v_add_f64 v[30:31], v[218:219], v[30:31]
	v_add_f64 v[4:5], v[4:5], v[34:35]
	;; [unrolled: 1-line block ×3, first 2 shown]
	v_add_f64 v[0:1], v[212:213], -v[0:1]
	v_mul_f64 v[192:193], v[0:1], s[18:19]
	v_fma_f64 v[194:195], v[32:33], s[6:7], -v[192:193]
	v_fma_f64 v[192:193], v[32:33], s[6:7], v[192:193]
	v_add_f64 v[42:43], v[194:195], v[42:43]
	v_mul_f64 v[194:195], v[2:3], s[18:19]
	v_add_f64 v[174:175], v[192:193], v[174:175]
	v_fma_f64 v[212:213], v[34:35], s[6:7], v[194:195]
	v_fma_f64 v[192:193], v[34:35], s[6:7], -v[194:195]
	v_mul_f64 v[194:195], v[0:1], s[38:39]
	v_add_f64 v[172:173], v[212:213], v[172:173]
	v_add_f64 v[192:193], v[192:193], v[216:217]
	v_fma_f64 v[212:213], v[32:33], s[26:27], -v[194:195]
	v_fma_f64 v[194:195], v[32:33], s[26:27], v[194:195]
	v_add_f64 v[38:39], v[212:213], v[38:39]
	v_mul_f64 v[212:213], v[2:3], s[38:39]
	v_add_f64 v[16:17], v[194:195], v[16:17]
	v_fma_f64 v[194:195], v[34:35], s[26:27], -v[212:213]
	v_fma_f64 v[214:215], v[34:35], s[26:27], v[212:213]
	v_add_f64 v[18:19], v[194:195], v[18:19]
	v_mul_f64 v[194:195], v[0:1], s[14:15]
	;; [unrolled: 5-line block ×4, first 2 shown]
	v_mul_f64 v[0:1], v[0:1], s[24:25]
	v_add_f64 v[22:23], v[214:215], v[22:23]
	v_fma_f64 v[212:213], v[32:33], s[20:21], -v[194:195]
	v_fma_f64 v[194:195], v[32:33], s[20:21], v[194:195]
	v_add_f64 v[20:21], v[212:213], v[20:21]
	v_mul_f64 v[212:213], v[2:3], s[28:29]
	v_add_f64 v[8:9], v[194:195], v[8:9]
	v_mul_f64 v[2:3], v[2:3], s[24:25]
	v_fma_f64 v[194:195], v[34:35], s[20:21], -v[212:213]
	v_fma_f64 v[214:215], v[34:35], s[20:21], v[212:213]
	v_add_f64 v[212:213], v[196:197], v[198:199]
	v_add_f64 v[196:197], v[196:197], -v[198:199]
	v_add_f64 v[10:11], v[194:195], v[10:11]
	v_fma_f64 v[194:195], v[32:33], s[22:23], -v[0:1]
	v_fma_f64 v[0:1], v[32:33], s[22:23], v[0:1]
	v_add_f64 v[32:33], v[206:207], -v[210:211]
	v_add_f64 v[12:13], v[214:215], v[12:13]
	v_add_f64 v[28:29], v[194:195], v[28:29]
	v_fma_f64 v[194:195], v[34:35], s[22:23], v[2:3]
	v_fma_f64 v[2:3], v[34:35], s[22:23], -v[2:3]
	v_add_f64 v[34:35], v[204:205], -v[208:209]
	v_add_f64 v[0:1], v[0:1], v[6:7]
	v_add_f64 v[6:7], v[204:205], v[208:209]
	;; [unrolled: 1-line block ×5, first 2 shown]
	v_mul_f64 v[194:195], v[34:35], s[24:25]
	v_add_f64 v[210:211], v[200:201], v[202:203]
	v_add_f64 v[200:201], v[200:201], -v[202:203]
	v_fma_f64 v[204:205], v[4:5], s[22:23], -v[194:195]
	v_fma_f64 v[194:195], v[4:5], s[22:23], v[194:195]
	v_add_f64 v[42:43], v[204:205], v[42:43]
	v_mul_f64 v[204:205], v[32:33], s[24:25]
	v_add_f64 v[174:175], v[194:195], v[174:175]
	v_fma_f64 v[194:195], v[6:7], s[22:23], -v[204:205]
	v_fma_f64 v[206:207], v[6:7], s[22:23], v[204:205]
	v_add_f64 v[194:195], v[194:195], v[192:193]
	v_mul_f64 v[192:193], v[34:35], s[36:37]
	v_add_f64 v[172:173], v[206:207], v[172:173]
	;; [unrolled: 5-line block ×6, first 2 shown]
	v_fma_f64 v[204:205], v[4:5], s[26:27], -v[192:193]
	v_add_f64 v[20:21], v[204:205], v[20:21]
	v_mul_f64 v[204:205], v[32:33], s[30:31]
	v_fma_f64 v[206:207], v[6:7], s[26:27], v[204:205]
	v_add_f64 v[206:207], v[206:207], v[12:13]
	v_fma_f64 v[12:13], v[4:5], s[26:27], v[192:193]
	v_add_f64 v[208:209], v[12:13], v[8:9]
	v_fma_f64 v[8:9], v[6:7], s[26:27], -v[204:205]
	v_add_f64 v[204:205], v[8:9], v[10:11]
	v_mul_f64 v[8:9], v[34:35], s[14:15]
	v_fma_f64 v[10:11], v[4:5], s[16:17], -v[8:9]
	v_fma_f64 v[4:5], v[4:5], s[16:17], v[8:9]
	v_mul_f64 v[8:9], v[196:197], s[34:35]
	v_add_f64 v[28:29], v[10:11], v[28:29]
	v_mul_f64 v[10:11], v[32:33], s[14:15]
	v_add_f64 v[32:33], v[4:5], v[0:1]
	v_mul_f64 v[4:5], v[196:197], s[30:31]
	v_fma_f64 v[0:1], v[6:7], s[16:17], -v[10:11]
	v_fma_f64 v[12:13], v[6:7], s[16:17], v[10:11]
	v_mul_f64 v[6:7], v[200:201], s[30:31]
	v_mul_f64 v[10:11], v[200:201], s[34:35]
	v_add_f64 v[34:35], v[0:1], v[2:3]
	v_fma_f64 v[0:1], v[210:211], s[26:27], -v[4:5]
	v_fma_f64 v[4:5], v[210:211], s[26:27], v[4:5]
	v_fma_f64 v[2:3], v[212:213], s[26:27], v[6:7]
	v_add_f64 v[30:31], v[12:13], v[30:31]
	v_add_f64 v[0:1], v[0:1], v[42:43]
	;; [unrolled: 1-line block ×3, first 2 shown]
	v_fma_f64 v[4:5], v[212:213], s[26:27], -v[6:7]
	v_fma_f64 v[6:7], v[212:213], s[20:21], v[10:11]
	v_fma_f64 v[10:11], v[212:213], s[20:21], -v[10:11]
	v_add_f64 v[2:3], v[2:3], v[172:173]
	v_add_f64 v[194:195], v[4:5], v[194:195]
	v_fma_f64 v[4:5], v[210:211], s[20:21], -v[8:9]
	v_fma_f64 v[8:9], v[210:211], s[20:21], v[8:9]
	v_add_f64 v[10:11], v[10:11], v[18:19]
	v_mul_f64 v[18:19], v[200:201], s[24:25]
	v_add_f64 v[6:7], v[6:7], v[14:15]
	v_add_f64 v[4:5], v[4:5], v[38:39]
	;; [unrolled: 1-line block ×3, first 2 shown]
	v_mul_f64 v[16:17], v[196:197], s[24:25]
	v_fma_f64 v[14:15], v[212:213], s[22:23], v[18:19]
	v_fma_f64 v[18:19], v[212:213], s[22:23], -v[18:19]
	v_fma_f64 v[12:13], v[210:211], s[22:23], -v[16:17]
	v_fma_f64 v[16:17], v[210:211], s[22:23], v[16:17]
	v_add_f64 v[14:15], v[14:15], v[22:23]
	v_add_f64 v[18:19], v[18:19], v[26:27]
	v_mul_f64 v[26:27], v[200:201], s[14:15]
	v_add_f64 v[12:13], v[12:13], v[36:37]
	v_mul_f64 v[36:37], v[196:197], s[18:19]
	v_add_f64 v[16:17], v[16:17], v[24:25]
	v_mul_f64 v[24:25], v[196:197], s[14:15]
	s_movk_i32 s14, 0x7000
	v_fma_f64 v[38:39], v[210:211], s[6:7], -v[36:37]
	v_fma_f64 v[36:37], v[210:211], s[6:7], v[36:37]
	v_fma_f64 v[22:23], v[210:211], s[16:17], -v[24:25]
	v_fma_f64 v[24:25], v[210:211], s[16:17], v[24:25]
	v_add_f64 v[28:29], v[38:39], v[28:29]
	v_mul_f64 v[38:39], v[200:201], s[18:19]
	v_add_f64 v[20:21], v[22:23], v[20:21]
	v_fma_f64 v[22:23], v[212:213], s[16:17], v[26:27]
	v_add_f64 v[32:33], v[36:37], v[32:33]
	v_fma_f64 v[26:27], v[212:213], s[16:17], -v[26:27]
	v_add_f64 v[24:25], v[24:25], v[208:209]
	v_fma_f64 v[42:43], v[212:213], s[6:7], v[38:39]
	v_fma_f64 v[36:37], v[212:213], s[6:7], -v[38:39]
	v_add_f64 v[22:23], v[22:23], v[206:207]
	s_movk_i32 s6, 0x7d20
	v_add_f64 v[26:27], v[26:27], v[204:205]
	v_add_f64 v[30:31], v[42:43], v[30:31]
	;; [unrolled: 1-line block ×3, first 2 shown]
	ds_write_b128 v255, v[188:191]
	ds_write_b128 v255, v[0:3] offset:2912
	ds_write_b128 v255, v[4:7] offset:5824
	;; [unrolled: 1-line block ×10, first 2 shown]
	v_add_co_u32_e32 v0, vcc, s6, v238
	v_addc_co_u32_e32 v1, vcc, 0, v41, vcc
	v_add_co_u32_e32 v6, vcc, s14, v238
	v_addc_co_u32_e32 v7, vcc, 0, v41, vcc
	s_waitcnt lgkmcnt(0)
	s_barrier
	global_load_dwordx4 v[6:9], v[6:7], off offset:3360
	ds_read_b128 v[2:5], v255
	s_mov_b32 s6, 0xb000
	s_waitcnt vmcnt(0) lgkmcnt(0)
	v_mul_f64 v[10:11], v[4:5], v[8:9]
	v_fma_f64 v[10:11], v[2:3], v[6:7], -v[10:11]
	v_mul_f64 v[2:3], v[2:3], v[8:9]
	v_fma_f64 v[12:13], v[4:5], v[6:7], v[2:3]
	v_add_co_u32_e32 v6, vcc, s6, v238
	v_addc_co_u32_e32 v7, vcc, 0, v41, vcc
	global_load_dwordx4 v[6:9], v[6:7], off offset:2992
	ds_read_b128 v[2:5], v255 offset:16016
	s_mov_b32 s6, 0xc000
	ds_write_b128 v255, v[10:13]
	s_waitcnt vmcnt(0) lgkmcnt(1)
	v_mul_f64 v[10:11], v[4:5], v[8:9]
	v_fma_f64 v[10:11], v[2:3], v[6:7], -v[10:11]
	v_mul_f64 v[2:3], v[2:3], v[8:9]
	v_fma_f64 v[12:13], v[4:5], v[6:7], v[2:3]
	global_load_dwordx4 v[6:9], v[0:1], off offset:2912
	ds_read_b128 v[2:5], v255 offset:2912
	ds_write_b128 v255, v[10:13] offset:16016
	s_waitcnt vmcnt(0) lgkmcnt(1)
	v_mul_f64 v[10:11], v[4:5], v[8:9]
	v_fma_f64 v[10:11], v[2:3], v[6:7], -v[10:11]
	v_mul_f64 v[2:3], v[2:3], v[8:9]
	v_fma_f64 v[12:13], v[4:5], v[6:7], v[2:3]
	v_add_co_u32_e32 v6, vcc, s6, v238
	v_addc_co_u32_e32 v7, vcc, 0, v41, vcc
	global_load_dwordx4 v[6:9], v[6:7], off offset:1808
	ds_read_b128 v[2:5], v255 offset:18928
	s_mov_b32 s6, 0x9000
	ds_write_b128 v255, v[10:13] offset:2912
	v_add_co_u32_e32 v14, vcc, s6, v238
	v_addc_co_u32_e32 v15, vcc, 0, v41, vcc
	s_mov_b32 s6, 0xd000
	v_add_co_u32_e32 v16, vcc, s6, v238
	v_addc_co_u32_e32 v17, vcc, 0, v41, vcc
	s_mov_b32 s6, 0xa000
	s_waitcnt vmcnt(0) lgkmcnt(1)
	v_mul_f64 v[10:11], v[4:5], v[8:9]
	v_fma_f64 v[10:11], v[2:3], v[6:7], -v[10:11]
	v_mul_f64 v[2:3], v[2:3], v[8:9]
	v_fma_f64 v[12:13], v[4:5], v[6:7], v[2:3]
	global_load_dwordx4 v[6:9], v[14:15], off offset:992
	ds_read_b128 v[2:5], v255 offset:5824
	ds_write_b128 v255, v[10:13] offset:18928
	s_waitcnt vmcnt(0) lgkmcnt(1)
	v_mul_f64 v[10:11], v[4:5], v[8:9]
	v_fma_f64 v[10:11], v[2:3], v[6:7], -v[10:11]
	v_mul_f64 v[2:3], v[2:3], v[8:9]
	v_fma_f64 v[12:13], v[4:5], v[6:7], v[2:3]
	global_load_dwordx4 v[6:9], v[16:17], off offset:624
	ds_read_b128 v[2:5], v255 offset:21840
	ds_write_b128 v255, v[10:13] offset:5824
	;; [unrolled: 8-line block ×4, first 2 shown]
	s_waitcnt vmcnt(0) lgkmcnt(1)
	v_mul_f64 v[10:11], v[4:5], v[8:9]
	v_fma_f64 v[10:11], v[2:3], v[6:7], -v[10:11]
	v_mul_f64 v[2:3], v[2:3], v[8:9]
	v_fma_f64 v[12:13], v[4:5], v[6:7], v[2:3]
	v_add_co_u32_e32 v6, vcc, s6, v238
	v_addc_co_u32_e32 v7, vcc, 0, v41, vcc
	global_load_dwordx4 v[6:9], v[6:7], off offset:2720
	ds_read_b128 v[2:5], v255 offset:11648
	s_mov_b32 s6, 0xe000
	ds_write_b128 v255, v[10:13] offset:24752
	s_waitcnt vmcnt(0) lgkmcnt(1)
	v_mul_f64 v[10:11], v[4:5], v[8:9]
	v_fma_f64 v[10:11], v[2:3], v[6:7], -v[10:11]
	v_mul_f64 v[2:3], v[2:3], v[8:9]
	v_fma_f64 v[12:13], v[4:5], v[6:7], v[2:3]
	v_add_co_u32_e32 v6, vcc, s6, v238
	v_addc_co_u32_e32 v7, vcc, 0, v41, vcc
	global_load_dwordx4 v[6:9], v[6:7], off offset:2352
	ds_read_b128 v[2:5], v255 offset:27664
	ds_write_b128 v255, v[10:13] offset:11648
	s_waitcnt vmcnt(0) lgkmcnt(1)
	v_mul_f64 v[10:11], v[4:5], v[8:9]
	v_fma_f64 v[10:11], v[2:3], v[6:7], -v[10:11]
	v_mul_f64 v[2:3], v[2:3], v[8:9]
	v_fma_f64 v[12:13], v[4:5], v[6:7], v[2:3]
	ds_write_b128 v255, v[10:13] offset:27664
	s_and_saveexec_b64 s[6:7], s[0:1]
	s_cbranch_execz .LBB0_17
; %bb.16:
	v_add_co_u32_e32 v2, vcc, 0x3000, v0
	v_addc_co_u32_e32 v3, vcc, 0, v1, vcc
	v_add_co_u32_e32 v0, vcc, s14, v0
	global_load_dwordx4 v[2:5], v[2:3], off offset:2272
	v_addc_co_u32_e32 v1, vcc, 0, v1, vcc
	global_load_dwordx4 v[6:9], v[0:1], off offset:1904
	ds_read_b128 v[10:13], v255 offset:14560
	ds_read_b128 v[14:17], v255 offset:30576
	s_waitcnt vmcnt(1) lgkmcnt(1)
	v_mul_f64 v[0:1], v[12:13], v[4:5]
	v_mul_f64 v[4:5], v[10:11], v[4:5]
	s_waitcnt vmcnt(0) lgkmcnt(0)
	v_mul_f64 v[18:19], v[16:17], v[8:9]
	v_mul_f64 v[8:9], v[14:15], v[8:9]
	v_fma_f64 v[0:1], v[10:11], v[2:3], -v[0:1]
	v_fma_f64 v[2:3], v[12:13], v[2:3], v[4:5]
	v_fma_f64 v[4:5], v[14:15], v[6:7], -v[18:19]
	v_fma_f64 v[6:7], v[16:17], v[6:7], v[8:9]
	ds_write_b128 v255, v[0:3] offset:14560
	ds_write_b128 v255, v[4:7] offset:30576
.LBB0_17:
	s_or_b64 exec, exec, s[6:7]
	s_waitcnt lgkmcnt(0)
	s_barrier
	ds_read_b128 v[188:191], v255
	ds_read_b128 v[212:215], v255 offset:2912
	ds_read_b128 v[200:203], v255 offset:18928
	;; [unrolled: 1-line block ×9, first 2 shown]
	buffer_load_dword v0, off, s[52:55], 0 offset:232 ; 4-byte Folded Reload
	s_waitcnt vmcnt(0)
	v_add_u32_e32 v2, 0x2d80, v0
	v_add_u32_e32 v1, 0x4440, v0
	;; [unrolled: 1-line block ×3, first 2 shown]
	s_and_saveexec_b64 s[6:7], s[0:1]
	s_cbranch_execz .LBB0_19
; %bb.18:
	ds_read_b128 v[192:195], v255 offset:14560
	ds_read_b128 v[184:187], v255 offset:30576
.LBB0_19:
	s_or_b64 exec, exec, s[6:7]
	s_waitcnt lgkmcnt(0)
	s_barrier
	buffer_load_dword v3, off, s[52:55], 0 offset:216 ; 4-byte Folded Reload
	v_add_f64 v[196:197], v[188:189], -v[196:197]
	v_add_f64 v[198:199], v[190:191], -v[198:199]
	;; [unrolled: 1-line block ×8, first 2 shown]
	v_fma_f64 v[188:189], v[188:189], 2.0, -v[196:197]
	v_fma_f64 v[190:191], v[190:191], 2.0, -v[198:199]
	v_add_f64 v[216:217], v[232:233], -v[216:217]
	v_add_f64 v[218:219], v[234:235], -v[218:219]
	v_add_f64 v[228:229], v[192:193], -v[184:185]
	v_add_f64 v[230:231], v[194:195], -v[186:187]
	v_fma_f64 v[212:213], v[212:213], 2.0, -v[200:201]
	v_fma_f64 v[214:215], v[214:215], 2.0, -v[202:203]
	;; [unrolled: 1-line block ×10, first 2 shown]
	s_waitcnt vmcnt(0)
	ds_write_b128 v3, v[188:191]
	ds_write_b128 v3, v[196:199] offset:16
	buffer_load_dword v3, off, s[52:55], 0 offset:224 ; 4-byte Folded Reload
	s_waitcnt vmcnt(0)
	ds_write_b128 v3, v[212:215]
	ds_write_b128 v3, v[200:203] offset:16
	ds_write_b128 v2, v[224:227]
	ds_write_b128 v2, v[204:207] offset:16
	;; [unrolled: 2-line block ×4, first 2 shown]
	s_and_saveexec_b64 s[6:7], s[0:1]
	s_cbranch_execz .LBB0_21
; %bb.20:
	buffer_load_dword v0, off, s[52:55], 0 offset:208 ; 4-byte Folded Reload
	s_waitcnt vmcnt(0)
	ds_write_b128 v0, v[192:195]
	ds_write_b128 v0, v[228:231] offset:16
.LBB0_21:
	s_or_b64 exec, exec, s[6:7]
	s_waitcnt lgkmcnt(0)
	s_barrier
	s_and_saveexec_b64 s[6:7], s[2:3]
	s_cbranch_execz .LBB0_23
; %bb.22:
	ds_read_b128 v[188:191], v255
	ds_read_b128 v[196:199], v255 offset:2464
	ds_read_b128 v[212:215], v255 offset:4928
	;; [unrolled: 1-line block ×12, first 2 shown]
.LBB0_23:
	s_or_b64 exec, exec, s[6:7]
	s_waitcnt lgkmcnt(11)
	v_mul_f64 v[0:1], v[114:115], v[198:199]
	s_mov_b32 s36, 0x4267c47c
	s_mov_b32 s37, 0xbfddbe06
	;; [unrolled: 1-line block ×7, first 2 shown]
	v_fma_f64 v[4:5], v[112:113], v[196:197], v[0:1]
	v_mul_f64 v[0:1], v[114:115], v[196:197]
	s_mov_b32 s15, 0x3fe22d96
	s_mov_b32 s28, 0x66966769
	;; [unrolled: 1-line block ×7, first 2 shown]
	v_fma_f64 v[8:9], v[112:113], v[198:199], -v[0:1]
	s_waitcnt lgkmcnt(10)
	v_mul_f64 v[0:1], v[110:111], v[214:215]
	s_mov_b32 s34, 0xb2365da1
	s_mov_b32 s35, 0xbfd6b1d8
	;; [unrolled: 1-line block ×7, first 2 shown]
	v_fma_f64 v[30:31], v[108:109], v[212:213], v[0:1]
	v_mul_f64 v[0:1], v[110:111], v[212:213]
	s_mov_b32 s25, 0xbfcea1e5
	s_mov_b32 s26, 0x93053d00
	;; [unrolled: 1-line block ×7, first 2 shown]
	v_fma_f64 v[36:37], v[108:109], v[214:215], -v[0:1]
	s_waitcnt lgkmcnt(9)
	v_mul_f64 v[0:1], v[102:103], v[202:203]
	s_mov_b32 s43, 0x3fddbe06
	s_mov_b32 s42, s36
	;; [unrolled: 1-line block ×7, first 2 shown]
	v_fma_f64 v[43:44], v[100:101], v[200:201], v[0:1]
	v_mul_f64 v[0:1], v[102:103], v[200:201]
	s_mov_b32 s48, s16
	v_fma_f64 v[100:101], v[100:101], v[202:203], -v[0:1]
	s_waitcnt lgkmcnt(8)
	v_mul_f64 v[0:1], v[94:95], v[226:227]
	v_fma_f64 v[45:46], v[92:93], v[224:225], v[0:1]
	v_mul_f64 v[0:1], v[94:95], v[224:225]
	v_fma_f64 v[110:111], v[92:93], v[226:227], -v[0:1]
	s_waitcnt lgkmcnt(7)
	v_mul_f64 v[0:1], v[118:119], v[206:207]
	v_fma_f64 v[112:113], v[116:117], v[204:205], v[0:1]
	v_mul_f64 v[0:1], v[118:119], v[204:205]
	;; [unrolled: 5-line block ×5, first 2 shown]
	v_add_f64 v[232:233], v[112:113], v[172:173]
	v_fma_f64 v[124:125], v[124:125], v[222:223], -v[0:1]
	s_waitcnt lgkmcnt(3)
	v_mul_f64 v[0:1], v[134:135], v[218:219]
	v_fma_f64 v[114:115], v[132:133], v[216:217], v[0:1]
	v_mul_f64 v[0:1], v[134:135], v[216:217]
	v_fma_f64 v[116:117], v[132:133], v[218:219], -v[0:1]
	s_waitcnt lgkmcnt(2)
	v_mul_f64 v[0:1], v[130:131], v[194:195]
	v_fma_f64 v[92:93], v[128:129], v[192:193], v[0:1]
	v_mul_f64 v[0:1], v[130:131], v[192:193]
	;; [unrolled: 5-line block ×3, first 2 shown]
	v_add_f64 v[239:240], v[30:31], v[38:39]
	v_fma_f64 v[41:42], v[120:121], v[230:231], -v[0:1]
	s_waitcnt lgkmcnt(0)
	v_mul_f64 v[0:1], v[90:91], v[182:183]
	v_add_f64 v[34:35], v[36:37], v[41:42]
	v_fma_f64 v[6:7], v[88:89], v[180:181], v[0:1]
	v_mul_f64 v[0:1], v[90:91], v[180:181]
	v_mul_f64 v[194:195], v[34:35], s[6:7]
	v_add_f64 v[222:223], v[4:5], v[6:7]
	v_fma_f64 v[0:1], v[88:89], v[182:183], -v[0:1]
	buffer_store_dword v4, off, s[52:55], 0 offset:208 ; 4-byte Folded Spill
	s_nop 0
	buffer_store_dword v5, off, s[52:55], 0 offset:212 ; 4-byte Folded Spill
	buffer_store_dword v6, off, s[52:55], 0 offset:296 ; 4-byte Folded Spill
	s_nop 0
	buffer_store_dword v7, off, s[52:55], 0 offset:300 ; 4-byte Folded Spill
	v_add_f64 v[88:89], v[100:101], v[94:95]
	v_add_f64 v[2:3], v[8:9], v[0:1]
	buffer_store_dword v8, off, s[52:55], 0 offset:304 ; 4-byte Folded Spill
	s_nop 0
	buffer_store_dword v9, off, s[52:55], 0 offset:308 ; 4-byte Folded Spill
	buffer_store_dword v0, off, s[52:55], 0 offset:424 ; 4-byte Folded Spill
	s_nop 0
	buffer_store_dword v1, off, s[52:55], 0 offset:428 ; 4-byte Folded Spill
	v_mul_f64 v[128:129], v[88:89], s[26:27]
	v_mul_f64 v[134:135], v[88:89], s[34:35]
	;; [unrolled: 1-line block ×6, first 2 shown]
	v_add_f64 v[218:219], v[4:5], -v[6:7]
	v_add_f64 v[4:5], v[8:9], -v[0:1]
	v_mul_f64 v[8:9], v[2:3], s[6:7]
	v_mul_f64 v[0:1], v[4:5], s[36:37]
	buffer_store_dword v0, off, s[52:55], 0 offset:432 ; 4-byte Folded Spill
	s_nop 0
	buffer_store_dword v1, off, s[52:55], 0 offset:436 ; 4-byte Folded Spill
	buffer_store_dword v8, off, s[52:55], 0 offset:440 ; 4-byte Folded Spill
	s_nop 0
	buffer_store_dword v9, off, s[52:55], 0 offset:444 ; 4-byte Folded Spill
	v_mul_f64 v[249:250], v[4:5], s[22:23]
	v_fma_f64 v[0:1], v[222:223], s[6:7], -v[0:1]
	v_add_f64 v[6:7], v[188:189], v[0:1]
	v_fma_f64 v[0:1], v[218:219], s[36:37], v[8:9]
	v_add_f64 v[8:9], v[190:191], v[0:1]
	v_mul_f64 v[0:1], v[4:5], s[16:17]
	buffer_store_dword v0, off, s[52:55], 0 offset:448 ; 4-byte Folded Spill
	s_nop 0
	buffer_store_dword v1, off, s[52:55], 0 offset:452 ; 4-byte Folded Spill
	buffer_store_dword v10, off, s[52:55], 0 offset:464 ; 4-byte Folded Spill
	s_nop 0
	buffer_store_dword v11, off, s[52:55], 0 offset:468 ; 4-byte Folded Spill
	v_fma_f64 v[0:1], v[222:223], s[14:15], -v[0:1]
	v_add_f64 v[12:13], v[188:189], v[0:1]
	v_fma_f64 v[0:1], v[218:219], s[16:17], v[10:11]
	v_mul_f64 v[10:11], v[2:3], s[18:19]
	v_add_f64 v[16:17], v[190:191], v[0:1]
	v_mul_f64 v[0:1], v[4:5], s[28:29]
	buffer_store_dword v0, off, s[52:55], 0 offset:456 ; 4-byte Folded Spill
	s_nop 0
	buffer_store_dword v1, off, s[52:55], 0 offset:460 ; 4-byte Folded Spill
	buffer_store_dword v10, off, s[52:55], 0 offset:472 ; 4-byte Folded Spill
	s_nop 0
	buffer_store_dword v11, off, s[52:55], 0 offset:476 ; 4-byte Folded Spill
	v_fma_f64 v[0:1], v[222:223], s[18:19], -v[0:1]
	v_add_f64 v[18:19], v[188:189], v[0:1]
	v_fma_f64 v[0:1], v[218:219], s[28:29], v[10:11]
	v_mul_f64 v[10:11], v[2:3], s[34:35]
	v_add_f64 v[20:21], v[190:191], v[0:1]
	v_mul_f64 v[0:1], v[4:5], s[30:31]
	buffer_store_dword v0, off, s[52:55], 0 offset:520 ; 4-byte Folded Spill
	s_nop 0
	buffer_store_dword v1, off, s[52:55], 0 offset:524 ; 4-byte Folded Spill
	buffer_store_dword v10, off, s[52:55], 0 offset:528 ; 4-byte Folded Spill
	s_nop 0
	buffer_store_dword v11, off, s[52:55], 0 offset:532 ; 4-byte Folded Spill
	;; [unrolled: 3-line block ×6, first 2 shown]
	v_fma_f64 v[0:1], v[222:223], s[34:35], -v[0:1]
	v_add_f64 v[241:242], v[30:31], -v[38:39]
	v_add_f64 v[36:37], v[36:37], -v[41:42]
	v_mul_f64 v[30:31], v[34:35], s[14:15]
	v_add_f64 v[22:23], v[188:189], v[0:1]
	v_fma_f64 v[0:1], v[218:219], s[30:31], v[10:11]
	v_fma_f64 v[10:11], v[222:223], s[20:21], -v[249:250]
	v_mul_f64 v[253:254], v[36:37], s[38:39]
	v_add_f64 v[24:25], v[190:191], v[0:1]
	v_mul_f64 v[0:1], v[2:3], s[20:21]
	v_add_f64 v[26:27], v[188:189], v[10:11]
	v_fma_f64 v[10:11], v[218:219], s[22:23], v[0:1]
	v_add_f64 v[28:29], v[190:191], v[10:11]
	v_mul_f64 v[10:11], v[4:5], s[24:25]
	v_fma_f64 v[2:3], v[222:223], s[26:27], -v[10:11]
	v_add_f64 v[4:5], v[188:189], v[2:3]
	v_fma_f64 v[2:3], v[218:219], s[24:25], v[14:15]
	v_add_f64 v[32:33], v[190:191], v[2:3]
	v_mul_f64 v[2:3], v[36:37], s[16:17]
	buffer_store_dword v2, off, s[52:55], 0 offset:480 ; 4-byte Folded Spill
	s_nop 0
	buffer_store_dword v3, off, s[52:55], 0 offset:484 ; 4-byte Folded Spill
	buffer_store_dword v30, off, s[52:55], 0 offset:488 ; 4-byte Folded Spill
	s_nop 0
	buffer_store_dword v31, off, s[52:55], 0 offset:492 ; 4-byte Folded Spill
	v_fma_f64 v[2:3], v[239:240], s[14:15], -v[2:3]
	v_add_f64 v[6:7], v[2:3], v[6:7]
	v_fma_f64 v[2:3], v[241:242], s[16:17], v[30:31]
	v_mul_f64 v[30:31], v[34:35], s[34:35]
	v_add_f64 v[8:9], v[2:3], v[8:9]
	v_mul_f64 v[2:3], v[36:37], s[30:31]
	buffer_store_dword v2, off, s[52:55], 0 offset:496 ; 4-byte Folded Spill
	s_nop 0
	buffer_store_dword v3, off, s[52:55], 0 offset:500 ; 4-byte Folded Spill
	buffer_store_dword v30, off, s[52:55], 0 offset:504 ; 4-byte Folded Spill
	s_nop 0
	buffer_store_dword v31, off, s[52:55], 0 offset:508 ; 4-byte Folded Spill
	v_fma_f64 v[2:3], v[239:240], s[34:35], -v[2:3]
	v_add_f64 v[41:42], v[2:3], v[12:13]
	v_fma_f64 v[2:3], v[241:242], s[30:31], v[30:31]
	v_mul_f64 v[12:13], v[34:35], s[26:27]
	v_mul_f64 v[30:31], v[34:35], s[18:19]
	v_add_f64 v[16:17], v[2:3], v[16:17]
	v_mul_f64 v[2:3], v[36:37], s[24:25]
	buffer_store_dword v2, off, s[52:55], 0 offset:512 ; 4-byte Folded Spill
	s_nop 0
	buffer_store_dword v3, off, s[52:55], 0 offset:516 ; 4-byte Folded Spill
	buffer_store_dword v12, off, s[52:55], 0 offset:536 ; 4-byte Folded Spill
	s_nop 0
	buffer_store_dword v13, off, s[52:55], 0 offset:540 ; 4-byte Folded Spill
	v_fma_f64 v[2:3], v[239:240], s[26:27], -v[2:3]
	v_add_f64 v[18:19], v[2:3], v[18:19]
	v_fma_f64 v[2:3], v[241:242], s[24:25], v[12:13]
	v_fma_f64 v[12:13], v[239:240], s[20:21], -v[253:254]
	v_add_f64 v[20:21], v[2:3], v[20:21]
	v_mul_f64 v[2:3], v[34:35], s[20:21]
	v_add_f64 v[22:23], v[12:13], v[22:23]
	v_fma_f64 v[12:13], v[241:242], s[38:39], v[2:3]
	v_add_f64 v[24:25], v[12:13], v[24:25]
	v_mul_f64 v[12:13], v[36:37], s[40:41]
	v_fma_f64 v[38:39], v[239:240], s[18:19], -v[12:13]
	v_add_f64 v[26:27], v[38:39], v[26:27]
	v_fma_f64 v[38:39], v[241:242], s[40:41], v[30:31]
	v_add_f64 v[28:29], v[38:39], v[28:29]
	v_mul_f64 v[38:39], v[36:37], s[42:43]
	v_fma_f64 v[34:35], v[239:240], s[6:7], -v[38:39]
	v_add_f64 v[34:35], v[34:35], v[4:5]
	v_fma_f64 v[4:5], v[241:242], s[42:43], v[194:195]
	v_add_f64 v[36:37], v[4:5], v[32:33]
	v_add_f64 v[4:5], v[43:44], v[92:93]
	buffer_store_dword v43, off, s[52:55], 0 offset:224 ; 4-byte Folded Spill
	s_nop 0
	buffer_store_dword v44, off, s[52:55], 0 offset:228 ; 4-byte Folded Spill
	buffer_store_dword v92, off, s[52:55], 0 offset:336 ; 4-byte Folded Spill
	s_nop 0
	buffer_store_dword v93, off, s[52:55], 0 offset:340 ; 4-byte Folded Spill
	;; [unrolled: 3-line block ×4, first 2 shown]
	v_add_f64 v[180:181], v[43:44], -v[92:93]
	v_add_f64 v[90:91], v[100:101], -v[94:95]
	v_mul_f64 v[43:44], v[88:89], s[18:19]
	v_mul_f64 v[32:33], v[90:91], s[28:29]
	buffer_store_dword v32, off, s[52:55], 0 offset:544 ; 4-byte Folded Spill
	s_nop 0
	buffer_store_dword v33, off, s[52:55], 0 offset:548 ; 4-byte Folded Spill
	buffer_store_dword v43, off, s[52:55], 0 offset:552 ; 4-byte Folded Spill
	s_nop 0
	buffer_store_dword v44, off, s[52:55], 0 offset:556 ; 4-byte Folded Spill
	v_mul_f64 v[251:252], v[90:91], s[24:25]
	v_mul_f64 v[130:131], v[90:91], s[44:45]
	;; [unrolled: 1-line block ×4, first 2 shown]
	v_fma_f64 v[32:33], v[4:5], s[18:19], -v[32:33]
	v_add_f64 v[92:93], v[32:33], v[6:7]
	v_fma_f64 v[6:7], v[180:181], s[28:29], v[43:44]
	v_mul_f64 v[32:33], v[88:89], s[6:7]
	v_add_f64 v[88:89], v[110:111], v[116:117]
	v_add_f64 v[94:95], v[6:7], v[8:9]
	v_fma_f64 v[6:7], v[4:5], s[26:27], -v[251:252]
	v_mul_f64 v[8:9], v[88:89], s[34:35]
	v_mul_f64 v[126:127], v[88:89], s[26:27]
	;; [unrolled: 1-line block ×3, first 2 shown]
	v_add_f64 v[41:42], v[6:7], v[41:42]
	v_fma_f64 v[6:7], v[180:181], s[24:25], v[128:129]
	v_add_f64 v[96:97], v[6:7], v[16:17]
	v_fma_f64 v[6:7], v[4:5], s[34:35], -v[130:131]
	v_add_f64 v[98:99], v[6:7], v[18:19]
	v_fma_f64 v[6:7], v[180:181], s[44:45], v[134:135]
	v_mul_f64 v[18:19], v[88:89], s[20:21]
	v_add_f64 v[100:101], v[6:7], v[20:21]
	v_mul_f64 v[20:21], v[90:91], s[42:43]
	v_fma_f64 v[6:7], v[4:5], s[6:7], -v[20:21]
	v_add_f64 v[102:103], v[6:7], v[22:23]
	v_fma_f64 v[6:7], v[180:181], s[42:43], v[32:33]
	v_add_f64 v[104:105], v[6:7], v[24:25]
	v_add_f64 v[24:25], v[45:46], v[114:115]
	buffer_store_dword v45, off, s[52:55], 0 offset:272 ; 4-byte Folded Spill
	s_nop 0
	buffer_store_dword v46, off, s[52:55], 0 offset:276 ; 4-byte Folded Spill
	buffer_store_dword v114, off, s[52:55], 0 offset:368 ; 4-byte Folded Spill
	s_nop 0
	buffer_store_dword v115, off, s[52:55], 0 offset:372 ; 4-byte Folded Spill
	;; [unrolled: 3-line block ×4, first 2 shown]
	v_fma_f64 v[6:7], v[4:5], s[14:15], -v[182:183]
	buffer_store_dword v112, off, s[52:55], 0 offset:288 ; 4-byte Folded Spill
	s_nop 0
	buffer_store_dword v113, off, s[52:55], 0 offset:292 ; 4-byte Folded Spill
	buffer_store_dword v172, off, s[52:55], 0 offset:384 ; 4-byte Folded Spill
	s_nop 0
	buffer_store_dword v173, off, s[52:55], 0 offset:388 ; 4-byte Folded Spill
	v_add_f64 v[106:107], v[6:7], v[26:27]
	v_fma_f64 v[6:7], v[180:181], s[16:17], v[230:231]
	v_mul_f64 v[26:27], v[88:89], s[6:7]
	v_add_f64 v[108:109], v[6:7], v[28:29]
	v_fma_f64 v[6:7], v[4:5], s[20:21], -v[196:197]
	v_add_f64 v[34:35], v[6:7], v[34:35]
	v_fma_f64 v[6:7], v[180:181], s[22:23], v[202:203]
	v_add_f64 v[36:37], v[6:7], v[36:37]
	v_add_f64 v[28:29], v[45:46], -v[114:115]
	v_add_f64 v[90:91], v[110:111], -v[116:117]
	v_mul_f64 v[114:115], v[88:89], s[18:19]
	v_add_f64 v[112:113], v[112:113], -v[172:173]
	v_add_f64 v[45:46], v[184:185], v[200:201]
	v_mul_f64 v[6:7], v[90:91], s[30:31]
	v_mul_f64 v[220:221], v[90:91], s[28:29]
	v_mul_f64 v[116:117], v[90:91], s[46:47]
	v_mul_f64 v[206:207], v[90:91], s[48:49]
	v_mul_f64 v[224:225], v[45:46], s[14:15]
	v_mul_f64 v[245:246], v[45:46], s[34:35]
	v_fma_f64 v[16:17], v[24:25], s[34:35], -v[6:7]
	v_fma_f64 v[88:89], v[24:25], s[14:15], -v[206:207]
	v_add_f64 v[92:93], v[16:17], v[92:93]
	v_fma_f64 v[16:17], v[28:29], s[30:31], v[8:9]
	v_add_f64 v[88:89], v[88:89], v[34:35]
	v_fma_f64 v[34:35], v[28:29], s[48:49], v[208:209]
	v_add_f64 v[94:95], v[16:17], v[94:95]
	v_mul_f64 v[16:17], v[90:91], s[38:39]
	v_fma_f64 v[22:23], v[24:25], s[20:21], -v[16:17]
	v_add_f64 v[41:42], v[22:23], v[41:42]
	v_fma_f64 v[22:23], v[28:29], s[38:39], v[18:19]
	v_add_f64 v[96:97], v[22:23], v[96:97]
	v_mul_f64 v[22:23], v[90:91], s[42:43]
	v_add_f64 v[90:91], v[34:35], v[36:37]
	v_fma_f64 v[110:111], v[24:25], s[6:7], -v[22:23]
	v_add_f64 v[98:99], v[110:111], v[98:99]
	v_fma_f64 v[110:111], v[28:29], s[42:43], v[26:27]
	v_add_f64 v[100:101], v[110:111], v[100:101]
	v_fma_f64 v[110:111], v[24:25], s[18:19], -v[220:221]
	v_add_f64 v[102:103], v[110:111], v[102:103]
	v_fma_f64 v[110:111], v[28:29], s[28:29], v[114:115]
	;; [unrolled: 4-line block ×3, first 2 shown]
	v_add_f64 v[108:109], v[110:111], v[108:109]
	v_add_f64 v[110:111], v[118:119], v[124:125]
	buffer_store_dword v118, off, s[52:55], 0 offset:344 ; 4-byte Folded Spill
	s_nop 0
	buffer_store_dword v119, off, s[52:55], 0 offset:348 ; 4-byte Folded Spill
	buffer_store_dword v124, off, s[52:55], 0 offset:408 ; 4-byte Folded Spill
	s_nop 0
	buffer_store_dword v125, off, s[52:55], 0 offset:412 ; 4-byte Folded Spill
	v_mul_f64 v[36:37], v[110:111], s[20:21]
	v_mul_f64 v[216:217], v[110:111], s[18:19]
	;; [unrolled: 1-line block ×5, first 2 shown]
	v_add_f64 v[118:119], v[118:119], -v[124:125]
	v_mul_f64 v[34:35], v[118:119], s[22:23]
	v_mul_f64 v[192:193], v[118:119], s[40:41]
	;; [unrolled: 1-line block ×7, first 2 shown]
	v_fma_f64 v[120:121], v[232:233], s[20:21], -v[34:35]
	v_fma_f64 v[124:125], v[232:233], s[26:27], -v[212:213]
	v_add_f64 v[92:93], v[120:121], v[92:93]
	v_fma_f64 v[120:121], v[112:113], s[22:23], v[36:37]
	v_add_f64 v[102:103], v[124:125], v[102:103]
	v_add_f64 v[94:95], v[120:121], v[94:95]
	v_fma_f64 v[120:121], v[232:233], s[18:19], -v[192:193]
	v_add_f64 v[41:42], v[120:121], v[41:42]
	v_fma_f64 v[120:121], v[112:113], s[40:41], v[216:217]
	v_add_f64 v[96:97], v[120:121], v[96:97]
	v_fma_f64 v[120:121], v[232:233], s[14:15], -v[226:227]
	v_add_f64 v[98:99], v[120:121], v[98:99]
	v_fma_f64 v[120:121], v[112:113], s[16:17], v[228:229]
	v_add_f64 v[100:101], v[120:121], v[100:101]
	v_mul_f64 v[120:121], v[110:111], s[26:27]
	v_fma_f64 v[124:125], v[112:113], s[46:47], v[120:121]
	v_add_f64 v[104:105], v[124:125], v[104:105]
	v_fma_f64 v[124:125], v[232:233], s[6:7], -v[132:133]
	v_add_f64 v[106:107], v[124:125], v[106:107]
	v_fma_f64 v[124:125], v[112:113], s[42:43], v[214:215]
	v_add_f64 v[174:175], v[124:125], v[108:109]
	v_add_f64 v[124:125], v[198:199], v[186:187]
	buffer_store_dword v198, off, s[52:55], 0 offset:360 ; 4-byte Folded Spill
	s_nop 0
	buffer_store_dword v199, off, s[52:55], 0 offset:364 ; 4-byte Folded Spill
	buffer_store_dword v186, off, s[52:55], 0 offset:400 ; 4-byte Folded Spill
	s_nop 0
	buffer_store_dword v187, off, s[52:55], 0 offset:404 ; 4-byte Folded Spill
	;; [unrolled: 3-line block ×4, first 2 shown]
	v_fma_f64 v[108:109], v[232:233], s[34:35], -v[210:211]
	s_waitcnt vmcnt(0)
	s_barrier
	v_add_f64 v[122:123], v[108:109], v[88:89]
	v_fma_f64 v[88:89], v[112:113], s[30:31], v[172:173]
	v_add_f64 v[43:44], v[88:89], v[90:91]
	v_add_f64 v[204:205], v[198:199], -v[186:187]
	v_add_f64 v[247:248], v[184:185], -v[200:201]
	v_mul_f64 v[200:201], v[45:46], s[26:27]
	v_mul_f64 v[184:185], v[45:46], s[20:21]
	;; [unrolled: 1-line block ×4, first 2 shown]
	v_fma_f64 v[90:91], v[204:205], s[24:25], v[200:201]
	v_mul_f64 v[236:237], v[247:248], s[22:23]
	v_mul_f64 v[186:187], v[247:248], s[48:49]
	;; [unrolled: 1-line block ×3, first 2 shown]
	v_fma_f64 v[88:89], v[124:125], s[26:27], -v[198:199]
	v_add_f64 v[90:91], v[90:91], v[94:95]
	v_add_f64 v[88:89], v[88:89], v[92:93]
	v_fma_f64 v[92:93], v[124:125], s[6:7], -v[234:235]
	v_add_f64 v[92:93], v[92:93], v[41:42]
	v_fma_f64 v[41:42], v[204:205], s[42:43], v[118:119]
	v_add_f64 v[94:95], v[41:42], v[96:97]
	v_fma_f64 v[41:42], v[124:125], s[20:21], -v[236:237]
	v_add_f64 v[96:97], v[41:42], v[98:99]
	v_fma_f64 v[41:42], v[204:205], s[22:23], v[184:185]
	;; [unrolled: 4-line block ×4, first 2 shown]
	v_add_f64 v[106:107], v[41:42], v[174:175]
	v_mul_f64 v[174:175], v[247:248], s[40:41]
	v_mul_f64 v[247:248], v[45:46], s[18:19]
	v_fma_f64 v[41:42], v[124:125], s[18:19], -v[174:175]
	v_add_f64 v[100:101], v[41:42], v[122:123]
	v_fma_f64 v[41:42], v[204:205], s[40:41], v[247:248]
	v_add_f64 v[102:103], v[41:42], v[43:44]
	s_and_saveexec_b64 s[50:51], s[2:3]
	s_cbranch_execz .LBB0_25
; %bb.24:
	v_mul_f64 v[43:44], v[112:113], s[30:31]
	v_mul_f64 v[122:123], v[218:219], s[24:25]
	;; [unrolled: 1-line block ×4, first 2 shown]
	v_add_f64 v[43:44], v[172:173], -v[43:44]
	v_mul_f64 v[172:173], v[222:223], s[26:27]
	v_add_f64 v[14:15], v[14:15], -v[122:123]
	v_mul_f64 v[122:123], v[241:242], s[42:43]
	v_add_f64 v[45:46], v[208:209], -v[45:46]
	v_mul_f64 v[208:209], v[239:240], s[18:19]
	v_add_f64 v[41:42], v[247:248], -v[41:42]
	v_mul_f64 v[247:248], v[28:29], s[30:31]
	v_add_f64 v[10:11], v[172:173], v[10:11]
	v_mul_f64 v[172:173], v[180:181], s[22:23]
	v_add_f64 v[122:123], v[194:195], -v[122:123]
	v_add_f64 v[14:15], v[190:191], v[14:15]
	v_mul_f64 v[194:195], v[232:233], s[34:35]
	v_add_f64 v[12:13], v[208:209], v[12:13]
	v_mul_f64 v[208:209], v[241:242], s[16:17]
	v_add_f64 v[8:9], v[8:9], -v[247:248]
	v_add_f64 v[10:11], v[188:189], v[10:11]
	v_add_f64 v[172:173], v[202:203], -v[172:173]
	v_mul_f64 v[202:203], v[239:240], s[6:7]
	v_add_f64 v[14:15], v[122:123], v[14:15]
	v_mul_f64 v[122:123], v[24:25], s[14:15]
	v_add_f64 v[194:195], v[194:195], v[210:211]
	;; [unrolled: 2-line block ×4, first 2 shown]
	v_add_f64 v[14:15], v[172:173], v[14:15]
	v_mul_f64 v[172:173], v[124:125], s[18:19]
	v_mul_f64 v[206:207], v[222:223], s[34:35]
	v_add_f64 v[10:11], v[38:39], v[10:11]
	v_add_f64 v[196:197], v[202:203], v[196:197]
	v_mul_f64 v[202:203], v[218:219], s[22:23]
	v_mul_f64 v[38:39], v[180:181], s[16:17]
	v_add_f64 v[14:15], v[45:46], v[14:15]
	;; [unrolled: 4-line block ×3, first 2 shown]
	v_add_f64 v[0:1], v[0:1], -v[202:203]
	v_mul_f64 v[202:203], v[241:242], s[40:41]
	v_add_f64 v[38:39], v[230:231], -v[38:39]
	v_add_f64 v[14:15], v[43:44], v[14:15]
	v_mul_f64 v[43:44], v[222:223], s[18:19]
	v_mul_f64 v[230:231], v[232:233], s[6:7]
	;; [unrolled: 1-line block ×3, first 2 shown]
	v_add_f64 v[10:11], v[122:123], v[10:11]
	v_add_f64 v[0:1], v[190:191], v[0:1]
	v_add_f64 v[30:31], v[30:31], -v[202:203]
	v_mul_f64 v[202:203], v[28:29], s[46:47]
	v_mul_f64 v[122:123], v[112:113], s[42:43]
	v_add_f64 v[132:133], v[230:231], v[132:133]
	v_mul_f64 v[230:231], v[4:5], s[18:19]
	v_add_f64 v[10:11], v[194:195], v[10:11]
	;; [unrolled: 2-line block ×3, first 2 shown]
	v_add_f64 v[126:127], v[126:127], -v[202:203]
	v_mul_f64 v[202:203], v[222:223], s[20:21]
	v_add_f64 v[122:123], v[214:215], -v[122:123]
	buffer_load_dword v222, off, s[52:55], 0 offset:528 ; 4-byte Folded Reload
	buffer_load_dword v223, off, s[52:55], 0 offset:532 ; 4-byte Folded Reload
	v_mul_f64 v[214:215], v[204:205], s[30:31]
	v_mul_f64 v[30:31], v[218:219], s[16:17]
	v_add_f64 v[182:183], v[194:195], v[182:183]
	v_add_f64 v[0:1], v[38:39], v[0:1]
	v_mul_f64 v[194:195], v[241:242], s[38:39]
	v_add_f64 v[202:203], v[202:203], v[249:250]
	v_mul_f64 v[38:39], v[218:219], s[28:29]
	v_mul_f64 v[218:219], v[124:125], s[34:35]
	v_add_f64 v[214:215], v[245:246], -v[214:215]
	v_mul_f64 v[245:246], v[24:25], s[34:35]
	v_mul_f64 v[249:250], v[204:205], s[24:25]
	v_add_f64 v[0:1], v[126:127], v[0:1]
	v_add_f64 v[2:3], v[2:3], -v[194:195]
	v_add_f64 v[202:203], v[188:189], v[202:203]
	v_mul_f64 v[194:195], v[180:181], s[42:43]
	v_mul_f64 v[126:127], v[239:240], s[14:15]
	v_add_f64 v[218:219], v[218:219], v[243:244]
	v_mul_f64 v[243:244], v[180:181], s[24:25]
	v_add_f64 v[6:7], v[245:246], v[6:7]
	v_add_f64 v[122:123], v[122:123], v[0:1]
	v_mul_f64 v[0:1], v[24:25], s[26:27]
	v_add_f64 v[12:13], v[12:13], v[202:203]
	v_mul_f64 v[202:203], v[239:240], s[34:35]
	v_add_f64 v[32:33], v[32:33], -v[194:195]
	v_mul_f64 v[194:195], v[180:181], s[28:29]
	v_mul_f64 v[180:181], v[180:181], s[44:45]
	v_add_f64 v[0:1], v[0:1], v[116:117]
	v_add_f64 v[12:13], v[182:183], v[12:13]
	v_mul_f64 v[116:117], v[239:240], s[26:27]
	v_mul_f64 v[239:240], v[239:240], s[20:21]
	;; [unrolled: 1-line block ×3, first 2 shown]
	v_add_f64 v[12:13], v[0:1], v[12:13]
	buffer_load_dword v0, off, s[52:55], 0 offset:520 ; 4-byte Folded Reload
	buffer_load_dword v1, off, s[52:55], 0 offset:524 ; 4-byte Folded Reload
	v_add_f64 v[114:115], v[114:115], -v[182:183]
	v_mul_f64 v[182:183], v[4:5], s[34:35]
	s_waitcnt vmcnt(2)
	v_add_f64 v[210:211], v[222:223], -v[210:211]
	v_mul_f64 v[222:223], v[241:242], s[30:31]
	v_mul_f64 v[241:242], v[241:242], s[24:25]
	v_add_f64 v[210:211], v[190:191], v[210:211]
	v_add_f64 v[2:3], v[2:3], v[210:211]
	v_mul_f64 v[210:211], v[4:5], s[26:27]
	v_mul_f64 v[4:5], v[4:5], s[6:7]
	v_add_f64 v[32:33], v[32:33], v[2:3]
	v_add_f64 v[2:3], v[41:42], v[14:15]
	;; [unrolled: 1-line block ×5, first 2 shown]
	v_mul_f64 v[14:15], v[24:25], s[20:21]
	v_mul_f64 v[132:133], v[28:29], s[38:39]
	;; [unrolled: 1-line block ×3, first 2 shown]
	v_add_f64 v[32:33], v[114:115], v[32:33]
	v_mul_f64 v[114:115], v[232:233], s[20:21]
	v_mul_f64 v[239:240], v[112:113], s[22:23]
	v_add_f64 v[14:15], v[14:15], v[16:17]
	v_add_f64 v[18:19], v[18:19], -v[132:133]
	s_waitcnt vmcnt(0)
	v_add_f64 v[206:207], v[206:207], v[0:1]
	v_add_f64 v[0:1], v[172:173], v[10:11]
	v_mul_f64 v[10:11], v[112:113], s[46:47]
	v_mul_f64 v[172:173], v[24:25], s[6:7]
	v_mul_f64 v[24:25], v[24:25], s[18:19]
	v_add_f64 v[26:27], v[26:27], -v[28:29]
	v_add_f64 v[36:37], v[36:37], -v[239:240]
	v_add_f64 v[206:207], v[188:189], v[206:207]
	v_add_f64 v[10:11], v[120:121], -v[10:11]
	v_mul_f64 v[120:121], v[204:205], s[48:49]
	v_add_f64 v[24:25], v[24:25], v[220:221]
	v_add_f64 v[22:23], v[172:173], v[22:23]
	v_mul_f64 v[220:221], v[124:125], s[26:27]
	v_add_f64 v[12:13], v[12:13], v[206:207]
	v_mul_f64 v[206:207], v[232:233], s[18:19]
	v_add_f64 v[32:33], v[10:11], v[32:33]
	v_add_f64 v[20:21], v[224:225], -v[120:121]
	v_mul_f64 v[224:225], v[232:233], s[14:15]
	v_mul_f64 v[232:233], v[232:233], s[26:27]
	v_mul_f64 v[120:121], v[112:113], s[40:41]
	v_add_f64 v[10:11], v[218:219], v[41:42]
	v_add_f64 v[4:5], v[4:5], v[12:13]
	;; [unrolled: 1-line block ×3, first 2 shown]
	buffer_load_dword v214, off, s[52:55], 0 offset:472 ; 4-byte Folded Reload
	buffer_load_dword v215, off, s[52:55], 0 offset:476 ; 4-byte Folded Reload
	v_add_f64 v[20:21], v[20:21], v[32:33]
	v_mul_f64 v[122:123], v[204:205], s[42:43]
	v_add_f64 v[212:213], v[232:233], v[212:213]
	v_mul_f64 v[41:42], v[124:125], s[6:7]
	v_mul_f64 v[112:113], v[112:113], s[16:17]
	v_add_f64 v[4:5], v[24:25], v[4:5]
	buffer_load_dword v24, off, s[52:55], 0 offset:536 ; 4-byte Folded Reload
	buffer_load_dword v25, off, s[52:55], 0 offset:540 ; 4-byte Folded Reload
	v_mul_f64 v[204:205], v[204:205], s[22:23]
	v_add_f64 v[112:113], v[228:229], -v[112:113]
	v_add_f64 v[212:213], v[212:213], v[4:5]
	v_add_f64 v[4:5], v[134:135], -v[180:181]
	s_waitcnt vmcnt(2)
	v_add_f64 v[38:39], v[214:215], -v[38:39]
	v_mul_f64 v[214:215], v[124:125], s[14:15]
	v_mul_f64 v[124:125], v[124:125], s[20:21]
	s_waitcnt vmcnt(0)
	v_add_f64 v[24:25], v[24:25], -v[241:242]
	v_add_f64 v[32:33], v[190:191], v[38:39]
	v_add_f64 v[38:39], v[214:215], v[186:187]
	buffer_load_dword v186, off, s[52:55], 0 offset:464 ; 4-byte Folded Reload
	buffer_load_dword v187, off, s[52:55], 0 offset:468 ; 4-byte Folded Reload
	v_add_f64 v[24:25], v[24:25], v[32:33]
	v_add_f64 v[4:5], v[4:5], v[24:25]
	v_add_f64 v[24:25], v[128:129], -v[243:244]
	v_add_f64 v[128:129], v[182:183], v[130:131]
	v_add_f64 v[4:5], v[26:27], v[4:5]
	;; [unrolled: 1-line block ×4, first 2 shown]
	s_waitcnt vmcnt(0)
	v_add_f64 v[30:31], v[186:187], -v[30:31]
	buffer_load_dword v186, off, s[52:55], 0 offset:304 ; 4-byte Folded Reload
	buffer_load_dword v187, off, s[52:55], 0 offset:308 ; 4-byte Folded Reload
	;; [unrolled: 1-line block ×8, first 2 shown]
	v_add_f64 v[30:31], v[190:191], v[30:31]
	s_waitcnt vmcnt(6)
	v_add_f64 v[186:187], v[190:191], v[186:187]
	s_waitcnt vmcnt(4)
	;; [unrolled: 2-line block ×3, first 2 shown]
	v_add_f64 v[43:44], v[43:44], v[134:135]
	buffer_load_dword v134, off, s[52:55], 0 offset:232 ; 4-byte Folded Reload
	buffer_load_dword v135, off, s[52:55], 0 offset:236 ; 4-byte Folded Reload
	;; [unrolled: 1-line block ×6, first 2 shown]
	s_waitcnt vmcnt(6)
	v_add_f64 v[32:33], v[32:33], -v[222:223]
	v_add_f64 v[43:44], v[188:189], v[43:44]
	v_add_f64 v[30:31], v[32:33], v[30:31]
	buffer_load_dword v32, off, s[52:55], 0 offset:280 ; 4-byte Folded Reload
	buffer_load_dword v33, off, s[52:55], 0 offset:284 ; 4-byte Folded Reload
	v_add_f64 v[24:25], v[24:25], v[30:31]
	v_add_f64 v[18:19], v[18:19], v[24:25]
	s_waitcnt vmcnt(6)
	v_add_f64 v[134:135], v[186:187], v[134:135]
	s_waitcnt vmcnt(4)
	;; [unrolled: 2-line block ×3, first 2 shown]
	v_add_f64 v[28:29], v[116:117], v[28:29]
	buffer_load_dword v116, off, s[52:55], 0 offset:224 ; 4-byte Folded Reload
	buffer_load_dword v117, off, s[52:55], 0 offset:228 ; 4-byte Folded Reload
	;; [unrolled: 1-line block ×8, first 2 shown]
	v_add_f64 v[28:29], v[28:29], v[43:44]
	v_add_f64 v[43:44], v[216:217], -v[120:121]
	s_waitcnt vmcnt(8)
	v_add_f64 v[32:33], v[134:135], v[32:33]
	v_add_f64 v[28:29], v[128:129], v[28:29]
	;; [unrolled: 1-line block ×4, first 2 shown]
	v_add_f64 v[28:29], v[118:119], -v[122:123]
	v_add_f64 v[112:113], v[112:113], v[22:23]
	s_waitcnt vmcnt(6)
	v_add_f64 v[116:117], v[180:181], v[116:117]
	s_waitcnt vmcnt(4)
	v_add_f64 v[26:27], v[32:33], v[26:27]
	v_add_f64 v[32:33], v[184:185], -v[204:205]
	s_waitcnt vmcnt(2)
	v_add_f64 v[30:31], v[116:117], v[30:31]
	s_waitcnt vmcnt(0)
	v_add_f64 v[24:25], v[26:27], v[24:25]
	buffer_load_dword v26, off, s[52:55], 0 offset:288 ; 4-byte Folded Reload
	buffer_load_dword v27, off, s[52:55], 0 offset:292 ; 4-byte Folded Reload
	;; [unrolled: 1-line block ×6, first 2 shown]
	s_waitcnt vmcnt(4)
	v_add_f64 v[26:27], v[30:31], v[26:27]
	v_add_f64 v[30:31], v[124:125], v[236:237]
	s_waitcnt vmcnt(0)
	v_add_f64 v[24:25], v[24:25], v[43:44]
	buffer_load_dword v43, off, s[52:55], 0 offset:360 ; 4-byte Folded Reload
	buffer_load_dword v44, off, s[52:55], 0 offset:364 ; 4-byte Folded Reload
	v_add_f64 v[116:117], v[116:117], -v[196:197]
	v_add_f64 v[116:117], v[190:191], v[116:117]
	s_waitcnt vmcnt(0)
	v_add_f64 v[26:27], v[26:27], v[43:44]
	buffer_load_dword v43, off, s[52:55], 0 offset:432 ; 4-byte Folded Reload
	buffer_load_dword v44, off, s[52:55], 0 offset:436 ; 4-byte Folded Reload
	;; [unrolled: 1-line block ×4, first 2 shown]
	s_waitcnt vmcnt(2)
	v_add_f64 v[43:44], v[174:175], v[43:44]
	s_waitcnt vmcnt(0)
	v_add_f64 v[45:46], v[45:46], v[118:119]
	buffer_load_dword v118, off, s[52:55], 0 offset:496 ; 4-byte Folded Reload
	buffer_load_dword v119, off, s[52:55], 0 offset:500 ; 4-byte Folded Reload
	;; [unrolled: 1-line block ×8, first 2 shown]
	v_add_f64 v[43:44], v[188:189], v[43:44]
	v_add_f64 v[45:46], v[188:189], v[45:46]
	s_waitcnt vmcnt(6)
	v_add_f64 v[118:119], v[202:203], v[118:119]
	s_waitcnt vmcnt(4)
	v_add_f64 v[120:121], v[120:121], -v[208:209]
	s_waitcnt vmcnt(2)
	v_add_f64 v[122:123], v[126:127], v[122:123]
	s_waitcnt vmcnt(0)
	v_add_f64 v[24:25], v[24:25], v[124:125]
	buffer_load_dword v124, off, s[52:55], 0 offset:400 ; 4-byte Folded Reload
	buffer_load_dword v125, off, s[52:55], 0 offset:404 ; 4-byte Folded Reload
	;; [unrolled: 1-line block ×4, first 2 shown]
	v_add_f64 v[45:46], v[118:119], v[45:46]
	v_add_f64 v[116:117], v[120:121], v[116:117]
	buffer_load_dword v120, off, s[52:55], 0 offset:544 ; 4-byte Folded Reload
	buffer_load_dword v121, off, s[52:55], 0 offset:548 ; 4-byte Folded Reload
	;; [unrolled: 1-line block ×4, first 2 shown]
	v_add_f64 v[43:44], v[122:123], v[43:44]
	s_waitcnt vmcnt(6)
	v_add_f64 v[26:27], v[26:27], v[124:125]
	s_waitcnt vmcnt(4)
	v_add_f64 v[126:127], v[126:127], -v[194:195]
	v_add_f64 v[124:125], v[210:211], v[251:252]
	s_waitcnt vmcnt(2)
	v_add_f64 v[120:121], v[230:231], v[120:121]
	s_waitcnt vmcnt(0)
	v_add_f64 v[24:25], v[24:25], v[128:129]
	buffer_load_dword v128, off, s[52:55], 0 offset:384 ; 4-byte Folded Reload
	buffer_load_dword v129, off, s[52:55], 0 offset:388 ; 4-byte Folded Reload
	v_add_f64 v[16:17], v[126:127], v[116:117]
	buffer_load_dword v116, off, s[52:55], 0 offset:376 ; 4-byte Folded Reload
	buffer_load_dword v117, off, s[52:55], 0 offset:380 ; 4-byte Folded Reload
	v_add_f64 v[45:46], v[124:125], v[45:46]
	v_add_f64 v[43:44], v[120:121], v[43:44]
	;; [unrolled: 1-line block ×13, first 2 shown]
	s_waitcnt vmcnt(2)
	v_add_f64 v[26:27], v[26:27], v[128:129]
	s_waitcnt vmcnt(0)
	v_add_f64 v[24:25], v[24:25], v[116:117]
	buffer_load_dword v116, off, s[52:55], 0 offset:368 ; 4-byte Folded Reload
	buffer_load_dword v117, off, s[52:55], 0 offset:372 ; 4-byte Folded Reload
	;; [unrolled: 1-line block ×4, first 2 shown]
	s_waitcnt vmcnt(2)
	v_add_f64 v[26:27], v[26:27], v[116:117]
	s_waitcnt vmcnt(0)
	v_add_f64 v[24:25], v[24:25], v[34:35]
	buffer_load_dword v34, off, s[52:55], 0 offset:336 ; 4-byte Folded Reload
	buffer_load_dword v35, off, s[52:55], 0 offset:340 ; 4-byte Folded Reload
	;; [unrolled: 1-line block ×4, first 2 shown]
	v_add_f64 v[116:117], v[206:207], v[192:193]
	v_add_f64 v[14:15], v[116:117], v[14:15]
	s_waitcnt vmcnt(2)
	v_add_f64 v[26:27], v[26:27], v[34:35]
	s_waitcnt vmcnt(0)
	v_add_f64 v[43:44], v[24:25], v[43:44]
	buffer_load_dword v24, off, s[52:55], 0 offset:320 ; 4-byte Folded Reload
	buffer_load_dword v25, off, s[52:55], 0 offset:324 ; 4-byte Folded Reload
	;; [unrolled: 1-line block ×4, first 2 shown]
	v_add_f64 v[34:35], v[41:42], v[234:235]
	v_add_f64 v[41:42], v[200:201], -v[249:250]
	v_add_f64 v[14:15], v[34:35], v[14:15]
	s_waitcnt vmcnt(2)
	v_add_f64 v[26:27], v[26:27], v[24:25]
	s_waitcnt vmcnt(0)
	v_add_f64 v[28:29], v[43:44], v[4:5]
	buffer_load_dword v4, off, s[52:55], 0 offset:296 ; 4-byte Folded Reload
	buffer_load_dword v5, off, s[52:55], 0 offset:300 ; 4-byte Folded Reload
	v_add_f64 v[24:25], v[41:42], v[8:9]
	buffer_load_dword v8, off, s[52:55], 0 offset:196 ; 4-byte Folded Reload
	buffer_load_dword v9, off, s[52:55], 0 offset:192 ; 4-byte Folded Reload
	s_waitcnt vmcnt(2)
	v_add_f64 v[26:27], v[26:27], v[4:5]
	v_add_f64 v[4:5], v[30:31], v[112:113]
	s_waitcnt vmcnt(1)
	v_mul_u32_u24_e32 v8, 26, v8
	s_waitcnt vmcnt(0)
	v_or_b32_e32 v8, v8, v9
	v_lshlrev_b32_e32 v8, 4, v8
	ds_write_b128 v8, v[26:29]
	ds_write_b128 v8, v[22:25] offset:32
	ds_write_b128 v8, v[14:17] offset:64
	;; [unrolled: 1-line block ×12, first 2 shown]
.LBB0_25:
	s_or_b64 exec, exec, s[50:51]
	s_waitcnt lgkmcnt(0)
	s_barrier
	ds_read_b128 v[112:115], v255
	ds_read_b128 v[180:183], v255 offset:4576
	ds_read_b128 v[132:135], v255 offset:9152
	;; [unrolled: 1-line block ×6, first 2 shown]
	s_and_saveexec_b64 s[2:3], s[4:5]
	s_cbranch_execz .LBB0_27
; %bb.26:
	ds_read_b128 v[100:103], v255 offset:2912
	ds_read_b128 v[104:107], v255 offset:7488
	;; [unrolled: 1-line block ×7, first 2 shown]
	s_waitcnt lgkmcnt(0)
	buffer_store_dword v0, off, s[52:55], 0 offset:4 ; 4-byte Folded Spill
	s_nop 0
	buffer_store_dword v1, off, s[52:55], 0 offset:8 ; 4-byte Folded Spill
	buffer_store_dword v2, off, s[52:55], 0 offset:12 ; 4-byte Folded Spill
	;; [unrolled: 1-line block ×3, first 2 shown]
.LBB0_27:
	s_or_b64 exec, exec, s[2:3]
	s_waitcnt lgkmcnt(5)
	v_mul_f64 v[0:1], v[74:75], v[182:183]
	v_mul_f64 v[2:3], v[74:75], v[180:181]
	s_waitcnt lgkmcnt(4)
	v_mul_f64 v[4:5], v[70:71], v[134:135]
	v_mul_f64 v[6:7], v[70:71], v[132:133]
	;; [unrolled: 3-line block ×3, first 2 shown]
	v_mul_f64 v[16:17], v[78:79], v[126:127]
	v_mul_f64 v[18:19], v[78:79], v[124:125]
	v_fma_f64 v[0:1], v[72:73], v[180:181], v[0:1]
	v_fma_f64 v[2:3], v[72:73], v[182:183], -v[2:3]
	v_fma_f64 v[4:5], v[68:69], v[132:133], v[4:5]
	v_fma_f64 v[6:7], v[68:69], v[134:135], -v[6:7]
	v_mul_f64 v[12:13], v[66:67], v[122:123]
	v_mul_f64 v[14:15], v[66:67], v[120:121]
	;; [unrolled: 1-line block ×4, first 2 shown]
	v_fma_f64 v[8:9], v[80:81], v[128:129], v[8:9]
	v_fma_f64 v[10:11], v[80:81], v[130:131], -v[10:11]
	v_fma_f64 v[16:17], v[76:77], v[124:125], v[16:17]
	v_fma_f64 v[18:19], v[76:77], v[126:127], -v[18:19]
	;; [unrolled: 2-line block ×4, first 2 shown]
	v_add_f64 v[24:25], v[0:1], v[8:9]
	v_add_f64 v[26:27], v[2:3], v[10:11]
	v_add_f64 v[0:1], v[0:1], -v[8:9]
	v_add_f64 v[2:3], v[2:3], -v[10:11]
	v_add_f64 v[8:9], v[4:5], v[16:17]
	v_add_f64 v[10:11], v[6:7], v[18:19]
	v_add_f64 v[4:5], v[4:5], -v[16:17]
	v_add_f64 v[6:7], v[6:7], -v[18:19]
	;; [unrolled: 4-line block ×4, first 2 shown]
	v_add_f64 v[24:25], v[24:25], -v[16:17]
	v_add_f64 v[26:27], v[26:27], -v[18:19]
	;; [unrolled: 1-line block ×4, first 2 shown]
	v_add_f64 v[32:33], v[12:13], v[4:5]
	v_add_f64 v[34:35], v[14:15], v[6:7]
	v_add_f64 v[36:37], v[12:13], -v[4:5]
	v_add_f64 v[38:39], v[14:15], -v[6:7]
	v_add_f64 v[16:17], v[16:17], v[20:21]
	v_add_f64 v[18:19], v[18:19], v[22:23]
	v_add_f64 v[4:5], v[4:5], -v[0:1]
	v_add_f64 v[6:7], v[6:7], -v[2:3]
	s_mov_b32 s18, 0x37e14327
	s_mov_b32 s6, 0x36b3c0b5
	;; [unrolled: 1-line block ×7, first 2 shown]
	v_add_f64 v[12:13], v[0:1], -v[12:13]
	v_add_f64 v[14:15], v[2:3], -v[14:15]
	v_add_f64 v[20:21], v[32:33], v[0:1]
	v_add_f64 v[22:23], v[34:35], v[2:3]
	;; [unrolled: 1-line block ×4, first 2 shown]
	v_mul_f64 v[24:25], v[24:25], s[18:19]
	v_mul_f64 v[26:27], v[26:27], s[18:19]
	;; [unrolled: 1-line block ×6, first 2 shown]
	s_mov_b32 s3, 0xbfebfeb5
	v_mul_f64 v[41:42], v[4:5], s[2:3]
	v_mul_f64 v[43:44], v[6:7], s[2:3]
	s_mov_b32 s20, 0xaaaaaaaa
	s_mov_b32 s14, 0x5476071b
	;; [unrolled: 1-line block ×8, first 2 shown]
	v_fma_f64 v[16:17], v[16:17], s[20:21], v[0:1]
	v_fma_f64 v[18:19], v[18:19], s[20:21], v[2:3]
	;; [unrolled: 1-line block ×4, first 2 shown]
	v_fma_f64 v[32:33], v[28:29], s[14:15], -v[32:33]
	v_fma_f64 v[34:35], v[30:31], s[14:15], -v[34:35]
	;; [unrolled: 1-line block ×4, first 2 shown]
	v_fma_f64 v[28:29], v[12:13], s[26:27], v[36:37]
	v_fma_f64 v[30:31], v[14:15], s[26:27], v[38:39]
	s_mov_b32 s29, 0x3fd5d0dc
	s_mov_b32 s28, s26
	v_fma_f64 v[12:13], v[12:13], s[28:29], -v[41:42]
	v_fma_f64 v[14:15], v[14:15], s[28:29], -v[43:44]
	;; [unrolled: 1-line block ×4, first 2 shown]
	s_mov_b32 s22, 0x37c3f68c
	s_mov_b32 s23, 0xbfdc38aa
	v_add_f64 v[36:37], v[8:9], v[16:17]
	v_add_f64 v[38:39], v[10:11], v[18:19]
	v_fma_f64 v[30:31], v[22:23], s[22:23], v[30:31]
	v_fma_f64 v[28:29], v[20:21], s[22:23], v[28:29]
	v_add_f64 v[24:25], v[24:25], v[16:17]
	v_add_f64 v[26:27], v[26:27], v[18:19]
	v_fma_f64 v[41:42], v[22:23], s[22:23], v[14:15]
	v_fma_f64 v[43:44], v[20:21], s[22:23], v[12:13]
	;; [unrolled: 4-line block ×3, first 2 shown]
	v_add_f64 v[4:5], v[30:31], v[36:37]
	v_add_f64 v[6:7], v[38:39], -v[28:29]
	v_add_f64 v[8:9], v[41:42], v[24:25]
	v_add_f64 v[10:11], v[26:27], -v[43:44]
	v_add_f64 v[20:21], v[24:25], -v[41:42]
	v_add_f64 v[22:23], v[43:44], v[26:27]
	v_add_f64 v[12:13], v[32:33], -v[16:17]
	v_add_f64 v[14:15], v[18:19], v[34:35]
	v_add_f64 v[16:17], v[16:17], v[32:33]
	v_add_f64 v[18:19], v[34:35], -v[18:19]
	v_add_f64 v[24:25], v[36:37], -v[30:31]
	v_add_f64 v[26:27], v[28:29], v[38:39]
	s_waitcnt vmcnt(0)
	s_barrier
	ds_write_b128 v40, v[0:3]
	ds_write_b128 v40, v[4:7] offset:416
	ds_write_b128 v40, v[8:11] offset:832
	;; [unrolled: 1-line block ×6, first 2 shown]
	s_and_saveexec_b64 s[30:31], s[4:5]
	s_cbranch_execz .LBB0_29
; %bb.28:
	buffer_load_dword v24, off, s[52:55], 0 offset:4 ; 4-byte Folded Reload
	buffer_load_dword v25, off, s[52:55], 0 offset:8 ; 4-byte Folded Reload
	;; [unrolled: 1-line block ×12, first 2 shown]
	v_mul_f64 v[14:15], v[54:55], v[104:105]
	v_mul_f64 v[16:17], v[86:87], v[88:89]
	;; [unrolled: 1-line block ×6, first 2 shown]
	v_mov_b32_e32 v50, v47
	v_fma_f64 v[14:15], v[52:53], v[106:107], -v[14:15]
	v_fma_f64 v[16:17], v[84:85], v[90:91], -v[16:17]
	;; [unrolled: 1-line block ×3, first 2 shown]
	v_fma_f64 v[0:1], v[52:53], v[104:105], v[0:1]
	v_fma_f64 v[8:9], v[48:49], v[108:109], v[8:9]
	;; [unrolled: 1-line block ×3, first 2 shown]
	v_add_f64 v[30:31], v[18:19], v[16:17]
	v_add_f64 v[16:17], v[18:19], -v[16:17]
	s_waitcnt vmcnt(10)
	v_mul_f64 v[12:13], v[58:59], v[24:25]
	s_waitcnt vmcnt(8)
	v_mul_f64 v[2:3], v[58:59], v[26:27]
	s_waitcnt vmcnt(4)
	v_mul_f64 v[4:5], v[34:35], v[94:95]
	s_waitcnt vmcnt(0)
	v_mul_f64 v[6:7], v[38:39], v[98:99]
	v_mul_f64 v[20:21], v[38:39], v[96:97]
	v_mul_f64 v[22:23], v[34:35], v[92:93]
	v_fma_f64 v[12:13], v[56:57], v[26:27], -v[12:13]
	v_fma_f64 v[2:3], v[56:57], v[24:25], v[2:3]
	v_fma_f64 v[4:5], v[32:33], v[92:93], v[4:5]
	;; [unrolled: 1-line block ×3, first 2 shown]
	v_fma_f64 v[20:21], v[36:37], v[98:99], -v[20:21]
	v_fma_f64 v[22:23], v[32:33], v[94:95], -v[22:23]
	v_add_f64 v[26:27], v[8:9], -v[10:11]
	v_add_f64 v[8:9], v[8:9], v[10:11]
	v_add_f64 v[28:29], v[14:15], v[12:13]
	v_add_f64 v[32:33], v[0:1], -v[2:3]
	v_add_f64 v[42:43], v[0:1], v[2:3]
	v_add_f64 v[24:25], v[4:5], -v[6:7]
	v_add_f64 v[4:5], v[6:7], v[4:5]
	v_add_f64 v[38:39], v[20:21], v[22:23]
	v_add_f64 v[12:13], v[14:15], -v[12:13]
	v_add_f64 v[20:21], v[22:23], -v[20:21]
	v_add_f64 v[36:37], v[30:31], v[28:29]
	v_add_f64 v[6:7], v[8:9], v[42:43]
	v_add_f64 v[34:35], v[24:25], -v[26:27]
	v_add_f64 v[40:41], v[32:33], -v[24:25]
	v_add_f64 v[0:1], v[24:25], v[26:27]
	v_add_f64 v[18:19], v[42:43], -v[4:5]
	v_add_f64 v[46:47], v[16:17], -v[12:13]
	v_add_f64 v[24:25], v[38:39], v[36:37]
	v_add_f64 v[44:45], v[20:21], -v[16:17]
	v_add_f64 v[6:7], v[4:5], v[6:7]
	v_add_f64 v[4:5], v[4:5], -v[8:9]
	v_add_f64 v[26:27], v[26:27], -v[32:33]
	v_add_f64 v[36:37], v[0:1], v[32:33]
	v_add_f64 v[0:1], v[28:29], -v[38:39]
	v_add_f64 v[38:39], v[38:39], -v[30:31]
	v_add_f64 v[2:3], v[102:103], v[24:25]
	v_mul_f64 v[18:19], v[18:19], s[18:19]
	v_add_f64 v[16:17], v[20:21], v[16:17]
	v_add_f64 v[28:29], v[30:31], -v[28:29]
	v_add_f64 v[8:9], v[8:9], -v[42:43]
	v_mul_f64 v[30:31], v[46:47], s[2:3]
	v_mul_f64 v[44:45], v[44:45], s[16:17]
	;; [unrolled: 1-line block ×3, first 2 shown]
	v_fma_f64 v[22:23], v[24:25], s[20:21], v[2:3]
	v_mul_f64 v[24:25], v[0:1], s[18:19]
	v_add_f64 v[0:1], v[100:101], v[6:7]
	v_mul_f64 v[48:49], v[26:27], s[2:3]
	v_mul_f64 v[10:11], v[34:35], s[16:17]
	v_fma_f64 v[32:33], v[38:39], s[6:7], v[24:25]
	v_add_f64 v[38:39], v[12:13], -v[20:21]
	v_fma_f64 v[20:21], v[6:7], s[20:21], v[0:1]
	v_fma_f64 v[6:7], v[4:5], s[6:7], v[18:19]
	v_add_f64 v[12:13], v[16:17], v[12:13]
	v_mul_f64 v[4:5], v[4:5], s[6:7]
	v_fma_f64 v[18:19], v[8:9], s[24:25], -v[18:19]
	v_fma_f64 v[24:25], v[28:29], s[24:25], -v[24:25]
	v_add_f64 v[16:17], v[32:33], v[22:23]
	v_fma_f64 v[30:31], v[38:39], s[28:29], -v[30:31]
	v_fma_f64 v[42:43], v[38:39], s[26:27], v[44:45]
	v_fma_f64 v[32:33], v[40:41], s[28:29], -v[48:49]
	v_add_f64 v[38:39], v[6:7], v[20:21]
	v_fma_f64 v[6:7], v[28:29], s[14:15], -v[14:15]
	v_add_f64 v[28:29], v[18:19], v[20:21]
	v_fma_f64 v[8:9], v[8:9], s[14:15], -v[4:5]
	v_fma_f64 v[34:35], v[40:41], s[26:27], v[10:11]
	v_fma_f64 v[30:31], v[12:13], s[22:23], v[30:31]
	v_fma_f64 v[10:11], v[26:27], s[2:3], -v[10:11]
	v_fma_f64 v[26:27], v[36:37], s[22:23], v[32:33]
	v_fma_f64 v[14:15], v[46:47], s[2:3], -v[44:45]
	v_fma_f64 v[40:41], v[12:13], s[22:23], v[42:43]
	v_add_f64 v[24:25], v[24:25], v[22:23]
	v_add_f64 v[32:33], v[8:9], v[20:21]
	v_fma_f64 v[34:35], v[36:37], s[22:23], v[34:35]
	v_add_f64 v[8:9], v[28:29], -v[30:31]
	v_add_f64 v[20:21], v[30:31], v[28:29]
	buffer_load_dword v28, off, s[52:55], 0 offset:200 ; 4-byte Folded Reload
	v_add_f64 v[18:19], v[6:7], v[22:23]
	v_fma_f64 v[22:23], v[36:37], s[22:23], v[10:11]
	v_fma_f64 v[12:13], v[12:13], s[22:23], v[14:15]
	v_add_f64 v[10:11], v[26:27], v[24:25]
	v_add_f64 v[6:7], v[34:35], v[16:17]
	s_movk_i32 s2, 0xb6
	v_add_f64 v[4:5], v[38:39], -v[40:41]
	v_add_f64 v[14:15], v[18:19], -v[22:23]
	v_add_f64 v[18:19], v[22:23], v[18:19]
	v_add_f64 v[22:23], v[24:25], -v[26:27]
	v_add_f64 v[26:27], v[16:17], -v[34:35]
	v_add_f64 v[24:25], v[40:41], v[38:39]
	v_add_f64 v[16:17], v[32:33], -v[12:13]
	v_add_f64 v[12:13], v[12:13], v[32:33]
	s_waitcnt vmcnt(0)
	v_mad_legacy_u16 v28, v50, s2, v28
	v_lshlrev_b32_e32 v28, 4, v28
	ds_write_b128 v28, v[0:3]
	ds_write_b128 v28, v[24:27] offset:416
	ds_write_b128 v28, v[20:23] offset:832
	;; [unrolled: 1-line block ×6, first 2 shown]
.LBB0_29:
	s_or_b64 exec, exec, s[30:31]
	s_waitcnt lgkmcnt(0)
	s_barrier
	ds_read_b128 v[0:3], v255 offset:2912
	ds_read_b128 v[8:11], v255 offset:8736
	;; [unrolled: 1-line block ×3, first 2 shown]
	s_mov_b32 s14, 0xf8bb580b
	s_mov_b32 s15, 0xbfe14ced
	s_waitcnt lgkmcnt(2)
	v_mul_f64 v[12:13], v[162:163], v[2:3]
	v_mul_f64 v[16:17], v[162:163], v[0:1]
	s_waitcnt lgkmcnt(1)
	v_mul_f64 v[22:23], v[146:147], v[8:9]
	s_mov_b32 s18, 0x8764f0ba
	s_mov_b32 s4, 0xd9c712b6
	;; [unrolled: 1-line block ×5, first 2 shown]
	v_fma_f64 v[28:29], v[160:161], v[0:1], v[12:13]
	ds_read_b128 v[12:15], v255
	s_waitcnt lgkmcnt(1)
	v_mul_f64 v[18:19], v[154:155], v[6:7]
	v_mul_f64 v[20:21], v[154:155], v[4:5]
	v_fma_f64 v[30:31], v[160:161], v[2:3], -v[16:17]
	v_mul_f64 v[16:17], v[146:147], v[10:11]
	ds_read_b128 v[0:3], v255 offset:11648
	v_fma_f64 v[38:39], v[144:145], v[10:11], -v[22:23]
	s_mov_b32 s28, 0x7f775887
	s_mov_b32 s34, 0xfd768dbf
	v_fma_f64 v[32:33], v[152:153], v[4:5], v[18:19]
	s_waitcnt lgkmcnt(1)
	v_add_f64 v[18:19], v[12:13], v[28:29]
	v_fma_f64 v[34:35], v[152:153], v[6:7], -v[20:21]
	ds_read_b128 v[4:7], v255 offset:14560
	s_waitcnt lgkmcnt(1)
	v_mul_f64 v[26:27], v[142:143], v[0:1]
	v_fma_f64 v[36:37], v[144:145], v[8:9], v[16:17]
	v_mul_f64 v[24:25], v[142:143], v[2:3]
	v_add_f64 v[20:21], v[14:15], v[30:31]
	s_waitcnt lgkmcnt(0)
	v_mul_f64 v[22:23], v[170:171], v[4:5]
	v_add_f64 v[8:9], v[18:19], v[32:33]
	s_mov_b32 s36, 0x9bcd5057
	s_mov_b32 s19, 0x3feaeb8c
	v_fma_f64 v[46:47], v[140:141], v[2:3], -v[26:27]
	s_mov_b32 s5, 0x3fda9628
	v_fma_f64 v[44:45], v[140:141], v[0:1], v[24:25]
	v_add_f64 v[16:17], v[20:21], v[34:35]
	v_mul_f64 v[20:21], v[170:171], v[6:7]
	v_add_f64 v[2:3], v[8:9], v[36:37]
	ds_read_b128 v[8:11], v255 offset:17472
	buffer_load_dword v94, off, s[52:55], 0 offset:72 ; 4-byte Folded Reload
	buffer_load_dword v95, off, s[52:55], 0 offset:76 ; 4-byte Folded Reload
	v_fma_f64 v[6:7], v[168:169], v[6:7], -v[22:23]
	s_mov_b32 s17, 0xbfefac9e
	s_mov_b32 s23, 0xbfc2375f
	v_add_f64 v[24:25], v[16:17], v[38:39]
	s_waitcnt lgkmcnt(0)
	v_mul_f64 v[40:41], v[158:159], v[10:11]
	v_fma_f64 v[48:49], v[168:169], v[4:5], v[20:21]
	v_add_f64 v[50:51], v[2:3], v[44:45]
	ds_read_b128 v[16:19], v255 offset:20384
	v_mul_f64 v[42:43], v[158:159], v[8:9]
	s_mov_b32 s27, 0xbfe82f19
	s_mov_b32 s29, 0xbfe4f49e
	v_add_f64 v[52:53], v[24:25], v[46:47]
	s_waitcnt lgkmcnt(0)
	v_mul_f64 v[54:55], v[150:151], v[18:19]
	v_fma_f64 v[8:9], v[156:157], v[8:9], v[40:41]
	v_add_f64 v[40:41], v[50:51], v[48:49]
	ds_read_b128 v[2:5], v255 offset:23296
	ds_read_b128 v[20:23], v255 offset:26208
	;; [unrolled: 1-line block ×3, first 2 shown]
	v_mul_f64 v[56:57], v[150:151], v[16:17]
	v_fma_f64 v[10:11], v[156:157], v[10:11], -v[42:43]
	s_waitcnt lgkmcnt(2)
	v_mul_f64 v[50:51], v[138:139], v[4:5]
	v_add_f64 v[42:43], v[52:53], v[6:7]
	s_waitcnt lgkmcnt(0)
	v_mul_f64 v[58:59], v[166:167], v[24:25]
	v_fma_f64 v[16:17], v[148:149], v[16:17], v[54:55]
	v_add_f64 v[40:41], v[40:41], v[8:9]
	v_mul_f64 v[52:53], v[138:139], v[2:3]
	v_fma_f64 v[18:19], v[148:149], v[18:19], -v[56:57]
	v_mul_f64 v[54:55], v[178:179], v[22:23]
	v_mul_f64 v[56:57], v[178:179], v[20:21]
	v_add_f64 v[42:43], v[42:43], v[10:11]
	v_mul_f64 v[60:61], v[166:167], v[26:27]
	v_fma_f64 v[26:27], v[164:165], v[26:27], -v[58:59]
	v_fma_f64 v[2:3], v[136:137], v[2:3], v[50:51]
	v_add_f64 v[40:41], v[40:41], v[16:17]
	v_fma_f64 v[4:5], v[136:137], v[4:5], -v[52:53]
	v_fma_f64 v[20:21], v[176:177], v[20:21], v[54:55]
	v_fma_f64 v[22:23], v[176:177], v[22:23], -v[56:57]
	v_add_f64 v[42:43], v[42:43], v[18:19]
	v_fma_f64 v[24:25], v[164:165], v[24:25], v[60:61]
	v_add_f64 v[50:51], v[30:31], -v[26:27]
	v_add_f64 v[30:31], v[30:31], v[26:27]
	v_add_f64 v[40:41], v[40:41], v[2:3]
	s_mov_b32 s35, 0xbfd207e7
	s_mov_b32 s37, 0xbfeeb42a
	v_add_f64 v[82:83], v[34:35], -v[22:23]
	v_add_f64 v[42:43], v[42:43], v[4:5]
	v_add_f64 v[52:53], v[28:29], v[24:25]
	v_mul_f64 v[54:55], v[50:51], s[14:15]
	v_add_f64 v[28:29], v[28:29], -v[24:25]
	v_add_f64 v[40:41], v[40:41], v[20:21]
	v_mul_f64 v[56:57], v[30:31], s[18:19]
	v_mul_f64 v[66:67], v[50:51], s[16:17]
	;; [unrolled: 1-line block ×3, first 2 shown]
	v_add_f64 v[42:43], v[42:43], v[22:23]
	v_mul_f64 v[72:73], v[50:51], s[26:27]
	v_fma_f64 v[58:59], v[52:53], s[18:19], v[54:55]
	v_mul_f64 v[74:75], v[30:31], s[28:29]
	v_add_f64 v[40:41], v[40:41], v[24:25]
	v_mul_f64 v[24:25], v[30:31], s[4:5]
	v_mul_f64 v[30:31], v[30:31], s[36:37]
	v_add_f64 v[22:23], v[34:35], v[22:23]
	v_add_f64 v[86:87], v[32:33], v[20:21]
	v_add_f64 v[20:21], v[32:33], -v[20:21]
	s_mov_b32 s21, 0x3fe14ced
	s_mov_b32 s20, s14
	;; [unrolled: 1-line block ×9, first 2 shown]
	v_add_f64 v[42:43], v[42:43], v[26:27]
	v_fma_f64 v[26:27], v[28:29], s[20:21], v[56:57]
	v_fma_f64 v[54:55], v[52:53], s[18:19], -v[54:55]
	v_add_f64 v[58:59], v[12:13], v[58:59]
	v_fma_f64 v[56:57], v[28:29], s[14:15], v[56:57]
	v_fma_f64 v[68:69], v[52:53], s[22:23], v[66:67]
	;; [unrolled: 1-line block ×3, first 2 shown]
	v_fma_f64 v[66:67], v[52:53], s[22:23], -v[66:67]
	v_fma_f64 v[70:71], v[28:29], s[16:17], v[70:71]
	s_waitcnt vmcnt(1)
	v_mad_u64_u32 v[0:1], s[2:3], s10, v94, 0
	s_mov_b32 s2, 0x8eee2c13
	s_mov_b32 s3, 0xbfed1bb4
	v_mul_f64 v[60:61], v[50:51], s[2:3]
	v_mul_f64 v[50:51], v[50:51], s[34:35]
	;; [unrolled: 1-line block ×3, first 2 shown]
	s_mov_b32 s6, s2
	v_fma_f64 v[64:65], v[28:29], s[6:7], v[24:25]
	v_fma_f64 v[24:25], v[28:29], s[2:3], v[24:25]
	;; [unrolled: 1-line block ×5, first 2 shown]
	v_fma_f64 v[60:61], v[52:53], s[4:5], -v[60:61]
	v_fma_f64 v[72:73], v[52:53], s[28:29], -v[72:73]
	v_fma_f64 v[74:75], v[28:29], s[26:27], v[74:75]
	v_fma_f64 v[34:35], v[52:53], s[36:37], v[50:51]
	;; [unrolled: 1-line block ×3, first 2 shown]
	v_mul_f64 v[88:89], v[22:23], s[4:5]
	v_fma_f64 v[50:51], v[52:53], s[36:37], -v[50:51]
	v_fma_f64 v[28:29], v[28:29], s[34:35], v[30:31]
	v_mul_f64 v[52:53], v[82:83], s[26:27]
	v_fma_f64 v[90:91], v[86:87], s[4:5], v[32:33]
	v_add_f64 v[26:27], v[14:15], v[26:27]
	v_add_f64 v[54:55], v[12:13], v[54:55]
	;; [unrolled: 1-line block ×17, first 2 shown]
	v_mul_f64 v[84:85], v[22:23], s[28:29]
	v_fma_f64 v[92:93], v[20:21], s[6:7], v[88:89]
	v_add_f64 v[12:13], v[12:13], v[50:51]
	v_add_f64 v[14:15], v[14:15], v[28:29]
	v_fma_f64 v[28:29], v[86:87], s[4:5], -v[32:33]
	v_fma_f64 v[32:33], v[20:21], s[2:3], v[88:89]
	v_fma_f64 v[50:51], v[86:87], s[28:29], v[52:53]
	v_add_f64 v[58:59], v[90:91], v[58:59]
	v_mul_f64 v[90:91], v[82:83], s[38:39]
	v_fma_f64 v[88:89], v[20:21], s[30:31], v[84:85]
	v_add_f64 v[26:27], v[92:93], v[26:27]
	v_mul_f64 v[92:93], v[22:23], s[36:37]
	v_add_f64 v[28:29], v[28:29], v[54:55]
	v_add_f64 v[32:33], v[32:33], v[56:57]
	;; [unrolled: 1-line block ×3, first 2 shown]
	v_fma_f64 v[56:57], v[20:21], s[26:27], v[84:85]
	v_fma_f64 v[62:63], v[86:87], s[36:37], v[90:91]
	v_mul_f64 v[84:85], v[82:83], s[24:25]
	v_add_f64 v[54:55], v[88:89], v[64:65]
	v_fma_f64 v[52:53], v[86:87], s[28:29], -v[52:53]
	v_fma_f64 v[64:65], v[20:21], s[34:35], v[92:93]
	v_mul_f64 v[88:89], v[22:23], s[22:23]
	v_fma_f64 v[92:93], v[20:21], s[38:39], v[92:93]
	v_add_f64 v[24:25], v[56:57], v[24:25]
	v_add_f64 v[56:57], v[62:63], v[68:69]
	v_fma_f64 v[62:63], v[86:87], s[22:23], v[84:85]
	v_mul_f64 v[82:83], v[82:83], s[20:21]
	v_add_f64 v[52:53], v[52:53], v[60:61]
	v_add_f64 v[60:61], v[64:65], v[76:77]
	v_fma_f64 v[76:77], v[20:21], s[24:25], v[88:89]
	v_add_f64 v[68:69], v[92:93], v[70:71]
	v_fma_f64 v[70:71], v[86:87], s[22:23], -v[84:85]
	v_mul_f64 v[22:23], v[22:23], s[18:19]
	v_add_f64 v[62:63], v[62:63], v[78:79]
	v_add_f64 v[78:79], v[38:39], -v[4:5]
	v_fma_f64 v[64:65], v[20:21], s[16:17], v[88:89]
	v_add_f64 v[4:5], v[38:39], v[4:5]
	v_fma_f64 v[90:91], v[86:87], s[36:37], -v[90:91]
	v_add_f64 v[38:39], v[70:71], v[72:73]
	v_add_f64 v[70:71], v[76:77], v[74:75]
	v_fma_f64 v[72:73], v[86:87], s[18:19], v[82:83]
	v_fma_f64 v[74:75], v[20:21], s[14:15], v[22:23]
	v_add_f64 v[76:77], v[36:37], v[2:3]
	v_add_f64 v[2:3], v[36:37], -v[2:3]
	v_mul_f64 v[36:37], v[78:79], s[16:17]
	v_add_f64 v[64:65], v[64:65], v[80:81]
	v_mul_f64 v[80:81], v[4:5], s[22:23]
	v_fma_f64 v[82:83], v[86:87], s[18:19], -v[82:83]
	v_fma_f64 v[20:21], v[20:21], s[20:21], v[22:23]
	v_add_f64 v[22:23], v[72:73], v[30:31]
	v_add_f64 v[30:31], v[74:75], v[34:35]
	v_mul_f64 v[34:35], v[78:79], s[38:39]
	v_mul_f64 v[72:73], v[4:5], s[36:37]
	v_fma_f64 v[74:75], v[76:77], s[22:23], v[36:37]
	v_fma_f64 v[84:85], v[2:3], s[24:25], v[80:81]
	v_add_f64 v[12:13], v[82:83], v[12:13]
	v_add_f64 v[14:15], v[20:21], v[14:15]
	v_fma_f64 v[20:21], v[76:77], s[22:23], -v[36:37]
	v_fma_f64 v[36:37], v[2:3], s[16:17], v[80:81]
	v_fma_f64 v[80:81], v[76:77], s[36:37], v[34:35]
	;; [unrolled: 1-line block ×3, first 2 shown]
	v_add_f64 v[58:59], v[74:75], v[58:59]
	v_mul_f64 v[74:75], v[78:79], s[6:7]
	v_add_f64 v[26:27], v[84:85], v[26:27]
	v_mul_f64 v[84:85], v[4:5], s[4:5]
	v_add_f64 v[20:21], v[20:21], v[28:29]
	v_add_f64 v[28:29], v[36:37], v[32:33]
	;; [unrolled: 1-line block ×4, first 2 shown]
	v_fma_f64 v[50:51], v[2:3], s[38:39], v[72:73]
	v_fma_f64 v[54:55], v[76:77], s[4:5], v[74:75]
	v_mul_f64 v[80:81], v[78:79], s[14:15]
	v_add_f64 v[66:67], v[90:91], v[66:67]
	v_fma_f64 v[34:35], v[76:77], s[36:37], -v[34:35]
	v_fma_f64 v[72:73], v[2:3], s[2:3], v[84:85]
	v_fma_f64 v[74:75], v[76:77], s[4:5], -v[74:75]
	v_fma_f64 v[84:85], v[2:3], s[6:7], v[84:85]
	v_add_f64 v[24:25], v[50:51], v[24:25]
	v_add_f64 v[50:51], v[54:55], v[56:57]
	v_fma_f64 v[54:55], v[76:77], s[18:19], v[80:81]
	v_mul_f64 v[82:83], v[4:5], s[18:19]
	v_add_f64 v[34:35], v[34:35], v[52:53]
	v_add_f64 v[52:53], v[72:73], v[60:61]
	;; [unrolled: 1-line block ×4, first 2 shown]
	v_mul_f64 v[68:69], v[78:79], s[26:27]
	v_fma_f64 v[72:73], v[76:77], s[18:19], -v[80:81]
	v_add_f64 v[54:55], v[54:55], v[62:63]
	v_add_f64 v[62:63], v[46:47], -v[18:19]
	v_fma_f64 v[56:57], v[2:3], s[20:21], v[82:83]
	v_mul_f64 v[4:5], v[4:5], s[28:29]
	v_fma_f64 v[74:75], v[2:3], s[14:15], v[82:83]
	v_add_f64 v[18:19], v[46:47], v[18:19]
	v_fma_f64 v[46:47], v[76:77], s[28:29], v[68:69]
	v_add_f64 v[38:39], v[72:73], v[38:39]
	v_add_f64 v[72:73], v[44:45], v[16:17]
	v_add_f64 v[16:17], v[44:45], -v[16:17]
	v_mul_f64 v[44:45], v[62:63], s[26:27]
	v_add_f64 v[56:57], v[56:57], v[64:65]
	v_fma_f64 v[64:65], v[2:3], s[30:31], v[4:5]
	v_add_f64 v[70:71], v[74:75], v[70:71]
	v_mul_f64 v[74:75], v[18:19], s[28:29]
	v_add_f64 v[22:23], v[46:47], v[22:23]
	v_fma_f64 v[46:47], v[76:77], s[28:29], -v[68:69]
	v_fma_f64 v[2:3], v[2:3], s[26:27], v[4:5]
	v_fma_f64 v[68:69], v[72:73], s[28:29], v[44:45]
	v_fma_f64 v[44:45], v[72:73], s[28:29], -v[44:45]
	v_add_f64 v[30:31], v[64:65], v[30:31]
	v_mul_f64 v[4:5], v[62:63], s[24:25]
	v_mul_f64 v[64:65], v[18:19], s[22:23]
	v_fma_f64 v[76:77], v[16:17], s[30:31], v[74:75]
	v_fma_f64 v[74:75], v[16:17], s[26:27], v[74:75]
	v_add_f64 v[12:13], v[46:47], v[12:13]
	v_add_f64 v[58:59], v[68:69], v[58:59]
	;; [unrolled: 1-line block ×3, first 2 shown]
	v_mul_f64 v[44:45], v[62:63], s[14:15]
	v_mul_f64 v[68:69], v[18:19], s[18:19]
	v_add_f64 v[2:3], v[2:3], v[14:15]
	v_fma_f64 v[14:15], v[72:73], s[22:23], v[4:5]
	v_fma_f64 v[46:47], v[16:17], s[16:17], v[64:65]
	v_add_f64 v[26:27], v[76:77], v[26:27]
	v_add_f64 v[28:29], v[74:75], v[28:29]
	v_fma_f64 v[4:5], v[72:73], s[22:23], -v[4:5]
	v_fma_f64 v[64:65], v[16:17], s[24:25], v[64:65]
	v_fma_f64 v[74:75], v[72:73], s[18:19], v[44:45]
	;; [unrolled: 1-line block ×3, first 2 shown]
	v_fma_f64 v[44:45], v[72:73], s[18:19], -v[44:45]
	v_fma_f64 v[68:69], v[16:17], s[14:15], v[68:69]
	v_add_f64 v[14:15], v[14:15], v[32:33]
	v_add_f64 v[32:33], v[46:47], v[36:37]
	v_mul_f64 v[36:37], v[62:63], s[34:35]
	v_mul_f64 v[46:47], v[18:19], s[36:37]
	v_add_f64 v[34:35], v[4:5], v[34:35]
	v_add_f64 v[24:25], v[64:65], v[24:25]
	;; [unrolled: 1-line block ×4, first 2 shown]
	v_add_f64 v[64:65], v[6:7], -v[10:11]
	v_add_f64 v[66:67], v[6:7], v[10:11]
	v_mul_f64 v[4:5], v[62:63], s[6:7]
	v_fma_f64 v[78:79], v[72:73], s[36:37], v[36:37]
	v_fma_f64 v[80:81], v[16:17], s[38:39], v[46:47]
	v_mul_f64 v[6:7], v[18:19], s[4:5]
	v_fma_f64 v[10:11], v[72:73], s[36:37], -v[36:37]
	v_fma_f64 v[18:19], v[16:17], s[34:35], v[46:47]
	v_add_f64 v[36:37], v[48:49], v[8:9]
	v_add_f64 v[46:47], v[48:49], -v[8:9]
	v_mul_f64 v[8:9], v[64:65], s[34:35]
	v_mul_f64 v[48:49], v[66:67], s[36:37]
	v_fma_f64 v[62:63], v[72:73], s[4:5], v[4:5]
	v_fma_f64 v[68:69], v[16:17], s[2:3], v[6:7]
	v_add_f64 v[38:39], v[10:11], v[38:39]
	v_add_f64 v[70:71], v[18:19], v[70:71]
	v_fma_f64 v[4:5], v[72:73], s[4:5], -v[4:5]
	v_fma_f64 v[6:7], v[16:17], s[6:7], v[6:7]
	v_fma_f64 v[10:11], v[36:37], s[36:37], v[8:9]
	;; [unrolled: 1-line block ×3, first 2 shown]
	v_add_f64 v[62:63], v[62:63], v[22:23]
	v_mul_f64 v[18:19], v[64:65], s[20:21]
	v_mul_f64 v[22:23], v[66:67], s[18:19]
	v_add_f64 v[50:51], v[74:75], v[50:51]
	v_add_f64 v[72:73], v[4:5], v[12:13]
	v_add_f64 v[74:75], v[6:7], v[2:3]
	v_add_f64 v[2:3], v[10:11], v[58:59]
	v_add_f64 v[4:5], v[16:17], v[26:27]
	v_fma_f64 v[6:7], v[36:37], s[36:37], -v[8:9]
	v_fma_f64 v[8:9], v[46:47], s[34:35], v[48:49]
	v_fma_f64 v[10:11], v[36:37], s[18:19], v[18:19]
	;; [unrolled: 1-line block ×3, first 2 shown]
	v_mul_f64 v[26:27], v[64:65], s[26:27]
	v_fma_f64 v[16:17], v[36:37], s[18:19], -v[18:19]
	v_fma_f64 v[18:19], v[46:47], s[20:21], v[22:23]
	v_mul_f64 v[22:23], v[66:67], s[28:29]
	v_add_f64 v[52:53], v[76:77], v[52:53]
	v_add_f64 v[68:69], v[68:69], v[30:31]
	;; [unrolled: 1-line block ×6, first 2 shown]
	v_fma_f64 v[20:21], v[36:37], s[28:29], v[26:27]
	v_add_f64 v[14:15], v[16:17], v[34:35]
	v_add_f64 v[16:17], v[18:19], v[24:25]
	v_fma_f64 v[24:25], v[46:47], s[30:31], v[22:23]
	v_fma_f64 v[26:27], v[36:37], s[28:29], -v[26:27]
	v_fma_f64 v[28:29], v[46:47], s[26:27], v[22:23]
	v_mul_f64 v[30:31], v[64:65], s[6:7]
	v_mul_f64 v[32:33], v[66:67], s[4:5]
	;; [unrolled: 1-line block ×4, first 2 shown]
	v_add_f64 v[54:55], v[78:79], v[54:55]
	v_add_f64 v[56:57], v[80:81], v[56:57]
	;; [unrolled: 1-line block ×6, first 2 shown]
	v_fma_f64 v[26:27], v[36:37], s[4:5], v[30:31]
	v_fma_f64 v[28:29], v[46:47], s[2:3], v[32:33]
	;; [unrolled: 1-line block ×4, first 2 shown]
	v_fma_f64 v[52:53], v[36:37], s[22:23], -v[34:35]
	v_fma_f64 v[48:49], v[46:47], s[16:17], v[48:49]
	v_fma_f64 v[30:31], v[36:37], s[4:5], -v[30:31]
	v_fma_f64 v[32:33], v[46:47], s[6:7], v[32:33]
	v_add_f64 v[26:27], v[26:27], v[54:55]
	v_add_f64 v[28:29], v[28:29], v[56:57]
	v_add_f64 v[34:35], v[44:45], v[62:63]
	v_add_f64 v[36:37], v[50:51], v[68:69]
	v_add_f64 v[44:45], v[52:53], v[72:73]
	v_add_f64 v[46:47], v[48:49], v[74:75]
	v_add_f64 v[30:31], v[30:31], v[38:39]
	v_add_f64 v[32:33], v[32:33], v[70:71]
	ds_write_b128 v255, v[40:43]
	ds_write_b128 v255, v[2:5] offset:2912
	ds_write_b128 v255, v[10:13] offset:5824
	ds_write_b128 v255, v[18:21] offset:8736
	ds_write_b128 v255, v[26:29] offset:11648
	ds_write_b128 v255, v[34:37] offset:14560
	ds_write_b128 v255, v[44:47] offset:17472
	ds_write_b128 v255, v[30:33] offset:20384
	ds_write_b128 v255, v[22:25] offset:23296
	ds_write_b128 v255, v[14:17] offset:26208
	ds_write_b128 v255, v[6:9] offset:29120
	s_waitcnt vmcnt(0) lgkmcnt(0)
	s_barrier
	ds_read_b128 v[2:5], v255
	ds_read_b128 v[6:9], v255 offset:2912
	buffer_load_dword v15, off, s[52:55], 0 offset:176 ; 4-byte Folded Reload
	buffer_load_dword v16, off, s[52:55], 0 offset:180 ; 4-byte Folded Reload
	buffer_load_dword v17, off, s[52:55], 0 offset:184 ; 4-byte Folded Reload
	buffer_load_dword v18, off, s[52:55], 0 offset:188 ; 4-byte Folded Reload
	v_mov_b32_e32 v24, s13
	s_mul_hi_u32 s7, s8, 0xfffffccd
	s_waitcnt lgkmcnt(1)
	v_mad_u64_u32 v[12:13], s[2:3], s11, v94, v[1:2]
	s_mul_i32 s6, s9, 0xfffffccd
	s_sub_i32 s7, s7, s8
	v_mov_b32_e32 v1, v12
	v_lshlrev_b64 v[0:1], 4, v[0:1]
	s_add_i32 s7, s7, s6
	v_add_co_u32_e32 v25, vcc, s12, v0
	v_addc_co_u32_e32 v24, vcc, v24, v1, vcc
	s_mul_i32 s6, s8, 0xfffffccd
	s_lshl_b64 s[6:7], s[6:7], 4
	v_mov_b32_e32 v31, s7
	s_waitcnt vmcnt(0)
	v_mul_f64 v[10:11], v[17:18], v[4:5]
	v_mul_f64 v[13:14], v[17:18], v[2:3]
	v_fma_f64 v[10:11], v[15:16], v[2:3], v[10:11]
	buffer_load_dword v3, off, s[52:55], 0  ; 4-byte Folded Reload
	v_fma_f64 v[12:13], v[15:16], v[4:5], -v[13:14]
	s_waitcnt vmcnt(0)
	v_mad_u64_u32 v[18:19], s[2:3], s8, v3, 0
	s_mov_b32 s2, 0x27a3ee9c
	s_mov_b32 s3, 0x3f405e1d
	v_mov_b32_e32 v2, v19
	v_mad_u64_u32 v[14:15], s[4:5], s9, v3, v[2:3]
	ds_read_b128 v[2:5], v255 offset:16016
	v_mul_f64 v[10:11], v[10:11], s[2:3]
	v_mov_b32_e32 v19, v14
	ds_read_b128 v[14:17], v255 offset:11648
	buffer_load_dword v26, off, s[52:55], 0 offset:24 ; 4-byte Folded Reload
	buffer_load_dword v27, off, s[52:55], 0 offset:28 ; 4-byte Folded Reload
	;; [unrolled: 1-line block ×4, first 2 shown]
	v_mul_f64 v[12:13], v[12:13], s[2:3]
	s_mul_i32 s4, s9, 0x3e9
	s_mul_hi_u32 s5, s8, 0x3e9
	s_add_i32 s5, s5, s4
	s_mul_i32 s4, s8, 0x3e9
	s_lshl_b64 s[4:5], s[4:5], 4
	v_mov_b32_e32 v30, s5
	s_waitcnt vmcnt(0) lgkmcnt(1)
	v_mul_f64 v[20:21], v[28:29], v[4:5]
	v_mul_f64 v[22:23], v[28:29], v[2:3]
	v_fma_f64 v[0:1], v[26:27], v[2:3], v[20:21]
	v_lshlrev_b64 v[2:3], 4, v[18:19]
	v_fma_f64 v[4:5], v[26:27], v[4:5], -v[22:23]
	v_add_co_u32_e32 v18, vcc, v25, v2
	v_addc_co_u32_e32 v19, vcc, v24, v3, vcc
	global_store_dwordx4 v[18:19], v[10:13], off
	buffer_load_dword v20, off, s[52:55], 0 offset:40 ; 4-byte Folded Reload
	buffer_load_dword v21, off, s[52:55], 0 offset:44 ; 4-byte Folded Reload
	;; [unrolled: 1-line block ×4, first 2 shown]
	v_mul_f64 v[0:1], v[0:1], s[2:3]
	v_mul_f64 v[2:3], v[4:5], s[2:3]
	v_add_co_u32_e32 v12, vcc, s4, v18
	v_addc_co_u32_e32 v13, vcc, v19, v30, vcc
	global_store_dwordx4 v[12:13], v[0:3], off
	v_add_co_u32_e32 v12, vcc, s6, v12
	v_addc_co_u32_e32 v13, vcc, v13, v31, vcc
	s_waitcnt vmcnt(1)
	v_mul_f64 v[10:11], v[22:23], v[8:9]
	v_mul_f64 v[4:5], v[22:23], v[6:7]
	v_fma_f64 v[6:7], v[20:21], v[6:7], v[10:11]
	v_fma_f64 v[8:9], v[20:21], v[8:9], -v[4:5]
	v_mul_f64 v[0:1], v[6:7], s[2:3]
	ds_read_b128 v[4:7], v255 offset:18928
	v_mul_f64 v[2:3], v[8:9], s[2:3]
	ds_read_b128 v[8:11], v255 offset:21840
	buffer_load_dword v26, off, s[52:55], 0 offset:56 ; 4-byte Folded Reload
	buffer_load_dword v27, off, s[52:55], 0 offset:60 ; 4-byte Folded Reload
	;; [unrolled: 1-line block ×4, first 2 shown]
	ds_read_b128 v[18:21], v255 offset:5824
	s_waitcnt vmcnt(0) lgkmcnt(2)
	v_mul_f64 v[22:23], v[28:29], v[6:7]
	v_mul_f64 v[24:25], v[28:29], v[4:5]
	v_fma_f64 v[22:23], v[26:27], v[4:5], v[22:23]
	v_fma_f64 v[24:25], v[26:27], v[6:7], -v[24:25]
	ds_read_b128 v[4:7], v255 offset:8736
	buffer_load_dword v32, off, s[52:55], 0 offset:80 ; 4-byte Folded Reload
	buffer_load_dword v33, off, s[52:55], 0 offset:84 ; 4-byte Folded Reload
	;; [unrolled: 1-line block ×4, first 2 shown]
	s_waitcnt vmcnt(0) lgkmcnt(1)
	v_mul_f64 v[26:27], v[34:35], v[20:21]
	v_mul_f64 v[28:29], v[34:35], v[18:19]
	global_store_dwordx4 v[12:13], v[0:3], off
	v_add_co_u32_e32 v12, vcc, s4, v12
	v_mul_f64 v[0:1], v[22:23], s[2:3]
	v_mul_f64 v[2:3], v[24:25], s[2:3]
	v_addc_co_u32_e32 v13, vcc, v13, v30, vcc
	v_fma_f64 v[18:19], v[32:33], v[18:19], v[26:27]
	v_fma_f64 v[20:21], v[32:33], v[20:21], -v[28:29]
	buffer_load_dword v26, off, s[52:55], 0 offset:96 ; 4-byte Folded Reload
	buffer_load_dword v27, off, s[52:55], 0 offset:100 ; 4-byte Folded Reload
	;; [unrolled: 1-line block ×4, first 2 shown]
	s_waitcnt vmcnt(0)
	v_mul_f64 v[22:23], v[28:29], v[10:11]
	v_mul_f64 v[24:25], v[28:29], v[8:9]
	global_store_dwordx4 v[12:13], v[0:3], off
	v_add_co_u32_e32 v12, vcc, s6, v12
	v_mul_f64 v[0:1], v[18:19], s[2:3]
	v_mul_f64 v[2:3], v[20:21], s[2:3]
	v_addc_co_u32_e32 v13, vcc, v13, v31, vcc
	v_fma_f64 v[8:9], v[26:27], v[8:9], v[22:23]
	v_fma_f64 v[18:19], v[26:27], v[10:11], -v[24:25]
	buffer_load_dword v24, off, s[52:55], 0 offset:160 ; 4-byte Folded Reload
	buffer_load_dword v25, off, s[52:55], 0 offset:164 ; 4-byte Folded Reload
	;; [unrolled: 1-line block ×4, first 2 shown]
	s_waitcnt vmcnt(0) lgkmcnt(0)
	v_mul_f64 v[20:21], v[26:27], v[6:7]
	v_mul_f64 v[22:23], v[26:27], v[4:5]
	global_store_dwordx4 v[12:13], v[0:3], off
	v_add_co_u32_e32 v12, vcc, s4, v12
	v_mul_f64 v[0:1], v[8:9], s[2:3]
	ds_read_b128 v[8:11], v255 offset:24752
	v_mul_f64 v[2:3], v[18:19], s[2:3]
	v_fma_f64 v[18:19], v[24:25], v[4:5], v[20:21]
	v_fma_f64 v[20:21], v[24:25], v[6:7], -v[22:23]
	ds_read_b128 v[4:7], v255 offset:27664
	buffer_load_dword v26, off, s[52:55], 0 offset:112 ; 4-byte Folded Reload
	buffer_load_dword v27, off, s[52:55], 0 offset:116 ; 4-byte Folded Reload
	buffer_load_dword v28, off, s[52:55], 0 offset:120 ; 4-byte Folded Reload
	buffer_load_dword v29, off, s[52:55], 0 offset:124 ; 4-byte Folded Reload
	v_addc_co_u32_e32 v13, vcc, v13, v30, vcc
	global_store_dwordx4 v[12:13], v[0:3], off
	s_nop 0
	v_mul_f64 v[0:1], v[18:19], s[2:3]
	v_mul_f64 v[2:3], v[20:21], s[2:3]
	v_add_co_u32_e32 v12, vcc, s6, v12
	v_addc_co_u32_e32 v13, vcc, v13, v31, vcc
	s_waitcnt vmcnt(1) lgkmcnt(1)
	v_mul_f64 v[22:23], v[28:29], v[10:11]
	v_mul_f64 v[24:25], v[28:29], v[8:9]
	v_fma_f64 v[8:9], v[26:27], v[8:9], v[22:23]
	v_fma_f64 v[10:11], v[26:27], v[10:11], -v[24:25]
	buffer_load_dword v26, off, s[52:55], 0 offset:128 ; 4-byte Folded Reload
	buffer_load_dword v27, off, s[52:55], 0 offset:132 ; 4-byte Folded Reload
	;; [unrolled: 1-line block ×8, first 2 shown]
	s_waitcnt vmcnt(4)
	v_mul_f64 v[18:19], v[28:29], v[16:17]
	v_mul_f64 v[20:21], v[28:29], v[14:15]
	s_waitcnt vmcnt(0) lgkmcnt(0)
	v_mul_f64 v[22:23], v[34:35], v[6:7]
	v_mul_f64 v[24:25], v[34:35], v[4:5]
	global_store_dwordx4 v[12:13], v[0:3], off
	v_add_co_u32_e32 v12, vcc, s4, v12
	v_mul_f64 v[0:1], v[8:9], s[2:3]
	v_mul_f64 v[2:3], v[10:11], s[2:3]
	v_fma_f64 v[8:9], v[26:27], v[14:15], v[18:19]
	v_fma_f64 v[10:11], v[26:27], v[16:17], -v[20:21]
	v_fma_f64 v[14:15], v[32:33], v[4:5], v[22:23]
	v_fma_f64 v[16:17], v[32:33], v[6:7], -v[24:25]
	v_addc_co_u32_e32 v13, vcc, v13, v30, vcc
	global_store_dwordx4 v[12:13], v[0:3], off
	v_mul_f64 v[4:5], v[8:9], s[2:3]
	v_mul_f64 v[6:7], v[10:11], s[2:3]
	;; [unrolled: 1-line block ×4, first 2 shown]
	v_add_co_u32_e32 v0, vcc, s6, v12
	v_addc_co_u32_e32 v1, vcc, v13, v31, vcc
	global_store_dwordx4 v[0:1], v[4:7], off
	v_add_co_u32_e32 v0, vcc, s4, v0
	v_addc_co_u32_e32 v1, vcc, v1, v30, vcc
	global_store_dwordx4 v[0:1], v[8:11], off
	s_and_b64 exec, exec, s[0:1]
	s_cbranch_execz .LBB0_31
; %bb.30:
	buffer_load_dword v7, off, s[52:55], 0 offset:20 ; 4-byte Folded Reload
	v_add_co_u32_e32 v2, vcc, 0x3000, v238
	s_movk_i32 s0, 0x7000
	s_waitcnt vmcnt(0)
	v_addc_co_u32_e32 v3, vcc, 0, v7, vcc
	v_add_co_u32_e32 v6, vcc, s0, v238
	global_load_dwordx4 v[2:5], v[2:3], off offset:2272
	v_addc_co_u32_e32 v7, vcc, 0, v7, vcc
	global_load_dwordx4 v[6:9], v[6:7], off offset:1904
	ds_read_b128 v[10:13], v255 offset:14560
	ds_read_b128 v[14:17], v255 offset:30576
	v_add_co_u32_e32 v0, vcc, s6, v0
	s_waitcnt vmcnt(1) lgkmcnt(1)
	v_mul_f64 v[18:19], v[12:13], v[4:5]
	v_mul_f64 v[4:5], v[10:11], v[4:5]
	s_waitcnt vmcnt(0) lgkmcnt(0)
	v_mul_f64 v[20:21], v[16:17], v[8:9]
	v_mul_f64 v[8:9], v[14:15], v[8:9]
	v_fma_f64 v[10:11], v[10:11], v[2:3], v[18:19]
	v_fma_f64 v[4:5], v[2:3], v[12:13], -v[4:5]
	v_fma_f64 v[12:13], v[14:15], v[6:7], v[20:21]
	v_fma_f64 v[8:9], v[6:7], v[16:17], -v[8:9]
	v_mov_b32_e32 v14, s7
	v_addc_co_u32_e32 v1, vcc, v1, v14, vcc
	v_mul_f64 v[2:3], v[10:11], s[2:3]
	v_mul_f64 v[4:5], v[4:5], s[2:3]
	v_mov_b32_e32 v15, s5
	v_mul_f64 v[6:7], v[12:13], s[2:3]
	v_mul_f64 v[8:9], v[8:9], s[2:3]
	v_add_co_u32_e32 v10, vcc, s4, v0
	v_addc_co_u32_e32 v11, vcc, v1, v15, vcc
	global_store_dwordx4 v[0:1], v[2:5], off
	global_store_dwordx4 v[10:11], v[6:9], off
.LBB0_31:
	s_endpgm
	.section	.rodata,"a",@progbits
	.p2align	6, 0x0
	.amdhsa_kernel bluestein_single_fwd_len2002_dim1_dp_op_CI_CI
		.amdhsa_group_segment_fixed_size 32032
		.amdhsa_private_segment_fixed_size 564
		.amdhsa_kernarg_size 104
		.amdhsa_user_sgpr_count 6
		.amdhsa_user_sgpr_private_segment_buffer 1
		.amdhsa_user_sgpr_dispatch_ptr 0
		.amdhsa_user_sgpr_queue_ptr 0
		.amdhsa_user_sgpr_kernarg_segment_ptr 1
		.amdhsa_user_sgpr_dispatch_id 0
		.amdhsa_user_sgpr_flat_scratch_init 0
		.amdhsa_user_sgpr_private_segment_size 0
		.amdhsa_uses_dynamic_stack 0
		.amdhsa_system_sgpr_private_segment_wavefront_offset 1
		.amdhsa_system_sgpr_workgroup_id_x 1
		.amdhsa_system_sgpr_workgroup_id_y 0
		.amdhsa_system_sgpr_workgroup_id_z 0
		.amdhsa_system_sgpr_workgroup_info 0
		.amdhsa_system_vgpr_workitem_id 0
		.amdhsa_next_free_vgpr 256
		.amdhsa_next_free_sgpr 56
		.amdhsa_reserve_vcc 1
		.amdhsa_reserve_flat_scratch 0
		.amdhsa_float_round_mode_32 0
		.amdhsa_float_round_mode_16_64 0
		.amdhsa_float_denorm_mode_32 3
		.amdhsa_float_denorm_mode_16_64 3
		.amdhsa_dx10_clamp 1
		.amdhsa_ieee_mode 1
		.amdhsa_fp16_overflow 0
		.amdhsa_exception_fp_ieee_invalid_op 0
		.amdhsa_exception_fp_denorm_src 0
		.amdhsa_exception_fp_ieee_div_zero 0
		.amdhsa_exception_fp_ieee_overflow 0
		.amdhsa_exception_fp_ieee_underflow 0
		.amdhsa_exception_fp_ieee_inexact 0
		.amdhsa_exception_int_div_zero 0
	.end_amdhsa_kernel
	.text
.Lfunc_end0:
	.size	bluestein_single_fwd_len2002_dim1_dp_op_CI_CI, .Lfunc_end0-bluestein_single_fwd_len2002_dim1_dp_op_CI_CI
                                        ; -- End function
	.section	.AMDGPU.csdata,"",@progbits
; Kernel info:
; codeLenInByte = 28384
; NumSgprs: 60
; NumVgprs: 256
; ScratchSize: 564
; MemoryBound: 0
; FloatMode: 240
; IeeeMode: 1
; LDSByteSize: 32032 bytes/workgroup (compile time only)
; SGPRBlocks: 7
; VGPRBlocks: 63
; NumSGPRsForWavesPerEU: 60
; NumVGPRsForWavesPerEU: 256
; Occupancy: 1
; WaveLimiterHint : 1
; COMPUTE_PGM_RSRC2:SCRATCH_EN: 1
; COMPUTE_PGM_RSRC2:USER_SGPR: 6
; COMPUTE_PGM_RSRC2:TRAP_HANDLER: 0
; COMPUTE_PGM_RSRC2:TGID_X_EN: 1
; COMPUTE_PGM_RSRC2:TGID_Y_EN: 0
; COMPUTE_PGM_RSRC2:TGID_Z_EN: 0
; COMPUTE_PGM_RSRC2:TIDIG_COMP_CNT: 0
	.type	__hip_cuid_bd879921b0fad83f,@object ; @__hip_cuid_bd879921b0fad83f
	.section	.bss,"aw",@nobits
	.globl	__hip_cuid_bd879921b0fad83f
__hip_cuid_bd879921b0fad83f:
	.byte	0                               ; 0x0
	.size	__hip_cuid_bd879921b0fad83f, 1

	.ident	"AMD clang version 19.0.0git (https://github.com/RadeonOpenCompute/llvm-project roc-6.4.0 25133 c7fe45cf4b819c5991fe208aaa96edf142730f1d)"
	.section	".note.GNU-stack","",@progbits
	.addrsig
	.addrsig_sym __hip_cuid_bd879921b0fad83f
	.amdgpu_metadata
---
amdhsa.kernels:
  - .args:
      - .actual_access:  read_only
        .address_space:  global
        .offset:         0
        .size:           8
        .value_kind:     global_buffer
      - .actual_access:  read_only
        .address_space:  global
        .offset:         8
        .size:           8
        .value_kind:     global_buffer
      - .actual_access:  read_only
        .address_space:  global
        .offset:         16
        .size:           8
        .value_kind:     global_buffer
      - .actual_access:  read_only
        .address_space:  global
        .offset:         24
        .size:           8
        .value_kind:     global_buffer
      - .actual_access:  read_only
        .address_space:  global
        .offset:         32
        .size:           8
        .value_kind:     global_buffer
      - .offset:         40
        .size:           8
        .value_kind:     by_value
      - .address_space:  global
        .offset:         48
        .size:           8
        .value_kind:     global_buffer
      - .address_space:  global
        .offset:         56
        .size:           8
        .value_kind:     global_buffer
      - .address_space:  global
        .offset:         64
        .size:           8
        .value_kind:     global_buffer
      - .address_space:  global
        .offset:         72
        .size:           8
        .value_kind:     global_buffer
      - .offset:         80
        .size:           4
        .value_kind:     by_value
      - .address_space:  global
        .offset:         88
        .size:           8
        .value_kind:     global_buffer
      - .address_space:  global
        .offset:         96
        .size:           8
        .value_kind:     global_buffer
    .group_segment_fixed_size: 32032
    .kernarg_segment_align: 8
    .kernarg_segment_size: 104
    .language:       OpenCL C
    .language_version:
      - 2
      - 0
    .max_flat_workgroup_size: 182
    .name:           bluestein_single_fwd_len2002_dim1_dp_op_CI_CI
    .private_segment_fixed_size: 564
    .sgpr_count:     60
    .sgpr_spill_count: 0
    .symbol:         bluestein_single_fwd_len2002_dim1_dp_op_CI_CI.kd
    .uniform_work_group_size: 1
    .uses_dynamic_stack: false
    .vgpr_count:     256
    .vgpr_spill_count: 193
    .wavefront_size: 64
amdhsa.target:   amdgcn-amd-amdhsa--gfx906
amdhsa.version:
  - 1
  - 2
...

	.end_amdgpu_metadata
